;; amdgpu-corpus repo=ROCm/rocFFT kind=compiled arch=gfx906 opt=O3
	.text
	.amdgcn_target "amdgcn-amd-amdhsa--gfx906"
	.amdhsa_code_object_version 6
	.protected	fft_rtc_back_len1156_factors_17_2_17_2_wgs_204_tpt_68_halfLds_sp_ip_CI_unitstride_sbrr_dirReg ; -- Begin function fft_rtc_back_len1156_factors_17_2_17_2_wgs_204_tpt_68_halfLds_sp_ip_CI_unitstride_sbrr_dirReg
	.globl	fft_rtc_back_len1156_factors_17_2_17_2_wgs_204_tpt_68_halfLds_sp_ip_CI_unitstride_sbrr_dirReg
	.p2align	8
	.type	fft_rtc_back_len1156_factors_17_2_17_2_wgs_204_tpt_68_halfLds_sp_ip_CI_unitstride_sbrr_dirReg,@function
fft_rtc_back_len1156_factors_17_2_17_2_wgs_204_tpt_68_halfLds_sp_ip_CI_unitstride_sbrr_dirReg: ; @fft_rtc_back_len1156_factors_17_2_17_2_wgs_204_tpt_68_halfLds_sp_ip_CI_unitstride_sbrr_dirReg
; %bb.0:
	v_mul_u32_u24_e32 v1, 0x3c4, v0
	s_load_dwordx2 s[12:13], s[4:5], 0x50
	s_load_dwordx4 s[8:11], s[4:5], 0x0
	s_load_dwordx2 s[2:3], s[4:5], 0x18
	v_lshrrev_b32_e32 v1, 16, v1
	v_mad_u64_u32 v[38:39], s[0:1], s6, 3, v[1:2]
	v_mov_b32_e32 v3, 0
	s_waitcnt lgkmcnt(0)
	v_cmp_lt_u64_e64 s[0:1], s[10:11], 2
	v_mov_b32_e32 v39, v3
	v_mov_b32_e32 v1, 0
	;; [unrolled: 1-line block ×3, first 2 shown]
	s_and_b64 vcc, exec, s[0:1]
	v_mov_b32_e32 v2, 0
	v_mov_b32_e32 v8, v39
	s_cbranch_vccnz .LBB0_8
; %bb.1:
	s_load_dwordx2 s[0:1], s[4:5], 0x10
	s_add_u32 s6, s2, 8
	s_addc_u32 s7, s3, 0
	v_mov_b32_e32 v1, 0
	v_mov_b32_e32 v5, v38
	s_waitcnt lgkmcnt(0)
	s_add_u32 s16, s0, 8
	s_mov_b64 s[14:15], 1
	v_mov_b32_e32 v2, 0
	s_addc_u32 s17, s1, 0
	v_mov_b32_e32 v6, v39
.LBB0_2:                                ; =>This Inner Loop Header: Depth=1
	s_load_dwordx2 s[18:19], s[16:17], 0x0
                                        ; implicit-def: $vgpr7_vgpr8
	s_waitcnt lgkmcnt(0)
	v_or_b32_e32 v4, s19, v6
	v_cmp_ne_u64_e32 vcc, 0, v[3:4]
	s_and_saveexec_b64 s[0:1], vcc
	s_xor_b64 s[20:21], exec, s[0:1]
	s_cbranch_execz .LBB0_4
; %bb.3:                                ;   in Loop: Header=BB0_2 Depth=1
	v_cvt_f32_u32_e32 v4, s18
	v_cvt_f32_u32_e32 v7, s19
	s_sub_u32 s0, 0, s18
	s_subb_u32 s1, 0, s19
	v_mac_f32_e32 v4, 0x4f800000, v7
	v_rcp_f32_e32 v4, v4
	v_mul_f32_e32 v4, 0x5f7ffffc, v4
	v_mul_f32_e32 v7, 0x2f800000, v4
	v_trunc_f32_e32 v7, v7
	v_mac_f32_e32 v4, 0xcf800000, v7
	v_cvt_u32_f32_e32 v7, v7
	v_cvt_u32_f32_e32 v4, v4
	v_mul_lo_u32 v8, s0, v7
	v_mul_hi_u32 v9, s0, v4
	v_mul_lo_u32 v11, s1, v4
	v_mul_lo_u32 v10, s0, v4
	v_add_u32_e32 v8, v9, v8
	v_add_u32_e32 v8, v8, v11
	v_mul_hi_u32 v9, v4, v10
	v_mul_lo_u32 v11, v4, v8
	v_mul_hi_u32 v13, v4, v8
	v_mul_hi_u32 v12, v7, v10
	v_mul_lo_u32 v10, v7, v10
	v_mul_hi_u32 v14, v7, v8
	v_add_co_u32_e32 v9, vcc, v9, v11
	v_addc_co_u32_e32 v11, vcc, 0, v13, vcc
	v_mul_lo_u32 v8, v7, v8
	v_add_co_u32_e32 v9, vcc, v9, v10
	v_addc_co_u32_e32 v9, vcc, v11, v12, vcc
	v_addc_co_u32_e32 v10, vcc, 0, v14, vcc
	v_add_co_u32_e32 v8, vcc, v9, v8
	v_addc_co_u32_e32 v9, vcc, 0, v10, vcc
	v_add_co_u32_e32 v4, vcc, v4, v8
	v_addc_co_u32_e32 v7, vcc, v7, v9, vcc
	v_mul_lo_u32 v8, s0, v7
	v_mul_hi_u32 v9, s0, v4
	v_mul_lo_u32 v10, s1, v4
	v_mul_lo_u32 v11, s0, v4
	v_add_u32_e32 v8, v9, v8
	v_add_u32_e32 v8, v8, v10
	v_mul_lo_u32 v12, v4, v8
	v_mul_hi_u32 v13, v4, v11
	v_mul_hi_u32 v14, v4, v8
	;; [unrolled: 1-line block ×3, first 2 shown]
	v_mul_lo_u32 v11, v7, v11
	v_mul_hi_u32 v9, v7, v8
	v_add_co_u32_e32 v12, vcc, v13, v12
	v_addc_co_u32_e32 v13, vcc, 0, v14, vcc
	v_mul_lo_u32 v8, v7, v8
	v_add_co_u32_e32 v11, vcc, v12, v11
	v_addc_co_u32_e32 v10, vcc, v13, v10, vcc
	v_addc_co_u32_e32 v9, vcc, 0, v9, vcc
	v_add_co_u32_e32 v8, vcc, v10, v8
	v_addc_co_u32_e32 v9, vcc, 0, v9, vcc
	v_add_co_u32_e32 v4, vcc, v4, v8
	v_addc_co_u32_e32 v9, vcc, v7, v9, vcc
	v_mad_u64_u32 v[7:8], s[0:1], v5, v9, 0
	v_mul_hi_u32 v10, v5, v4
	v_add_co_u32_e32 v11, vcc, v10, v7
	v_addc_co_u32_e32 v12, vcc, 0, v8, vcc
	v_mad_u64_u32 v[7:8], s[0:1], v6, v4, 0
	v_mad_u64_u32 v[9:10], s[0:1], v6, v9, 0
	v_add_co_u32_e32 v4, vcc, v11, v7
	v_addc_co_u32_e32 v4, vcc, v12, v8, vcc
	v_addc_co_u32_e32 v7, vcc, 0, v10, vcc
	v_add_co_u32_e32 v4, vcc, v4, v9
	v_addc_co_u32_e32 v9, vcc, 0, v7, vcc
	v_mul_lo_u32 v10, s19, v4
	v_mul_lo_u32 v11, s18, v9
	v_mad_u64_u32 v[7:8], s[0:1], s18, v4, 0
	v_add3_u32 v8, v8, v11, v10
	v_sub_u32_e32 v10, v6, v8
	v_mov_b32_e32 v11, s19
	v_sub_co_u32_e32 v7, vcc, v5, v7
	v_subb_co_u32_e64 v10, s[0:1], v10, v11, vcc
	v_subrev_co_u32_e64 v11, s[0:1], s18, v7
	v_subbrev_co_u32_e64 v10, s[0:1], 0, v10, s[0:1]
	v_cmp_le_u32_e64 s[0:1], s19, v10
	v_cndmask_b32_e64 v12, 0, -1, s[0:1]
	v_cmp_le_u32_e64 s[0:1], s18, v11
	v_cndmask_b32_e64 v11, 0, -1, s[0:1]
	v_cmp_eq_u32_e64 s[0:1], s19, v10
	v_cndmask_b32_e64 v10, v12, v11, s[0:1]
	v_add_co_u32_e64 v11, s[0:1], 2, v4
	v_addc_co_u32_e64 v12, s[0:1], 0, v9, s[0:1]
	v_add_co_u32_e64 v13, s[0:1], 1, v4
	v_addc_co_u32_e64 v14, s[0:1], 0, v9, s[0:1]
	v_subb_co_u32_e32 v8, vcc, v6, v8, vcc
	v_cmp_ne_u32_e64 s[0:1], 0, v10
	v_cmp_le_u32_e32 vcc, s19, v8
	v_cndmask_b32_e64 v10, v14, v12, s[0:1]
	v_cndmask_b32_e64 v12, 0, -1, vcc
	v_cmp_le_u32_e32 vcc, s18, v7
	v_cndmask_b32_e64 v7, 0, -1, vcc
	v_cmp_eq_u32_e32 vcc, s19, v8
	v_cndmask_b32_e32 v7, v12, v7, vcc
	v_cmp_ne_u32_e32 vcc, 0, v7
	v_cndmask_b32_e64 v7, v13, v11, s[0:1]
	v_cndmask_b32_e32 v8, v9, v10, vcc
	v_cndmask_b32_e32 v7, v4, v7, vcc
.LBB0_4:                                ;   in Loop: Header=BB0_2 Depth=1
	s_andn2_saveexec_b64 s[0:1], s[20:21]
	s_cbranch_execz .LBB0_6
; %bb.5:                                ;   in Loop: Header=BB0_2 Depth=1
	v_cvt_f32_u32_e32 v4, s18
	s_sub_i32 s20, 0, s18
	v_rcp_iflag_f32_e32 v4, v4
	v_mul_f32_e32 v4, 0x4f7ffffe, v4
	v_cvt_u32_f32_e32 v4, v4
	v_mul_lo_u32 v7, s20, v4
	v_mul_hi_u32 v7, v4, v7
	v_add_u32_e32 v4, v4, v7
	v_mul_hi_u32 v4, v5, v4
	v_mul_lo_u32 v7, v4, s18
	v_add_u32_e32 v8, 1, v4
	v_sub_u32_e32 v7, v5, v7
	v_subrev_u32_e32 v9, s18, v7
	v_cmp_le_u32_e32 vcc, s18, v7
	v_cndmask_b32_e32 v7, v7, v9, vcc
	v_cndmask_b32_e32 v4, v4, v8, vcc
	v_add_u32_e32 v8, 1, v4
	v_cmp_le_u32_e32 vcc, s18, v7
	v_cndmask_b32_e32 v7, v4, v8, vcc
	v_mov_b32_e32 v8, v3
.LBB0_6:                                ;   in Loop: Header=BB0_2 Depth=1
	s_or_b64 exec, exec, s[0:1]
	v_mul_lo_u32 v4, v8, s18
	v_mul_lo_u32 v11, v7, s19
	v_mad_u64_u32 v[9:10], s[0:1], v7, s18, 0
	s_load_dwordx2 s[0:1], s[6:7], 0x0
	s_add_u32 s14, s14, 1
	v_add3_u32 v4, v10, v11, v4
	v_sub_co_u32_e32 v5, vcc, v5, v9
	v_subb_co_u32_e32 v4, vcc, v6, v4, vcc
	s_waitcnt lgkmcnt(0)
	v_mul_lo_u32 v4, s0, v4
	v_mul_lo_u32 v6, s1, v5
	v_mad_u64_u32 v[1:2], s[0:1], s0, v5, v[1:2]
	s_addc_u32 s15, s15, 0
	s_add_u32 s6, s6, 8
	v_add3_u32 v2, v6, v2, v4
	v_mov_b32_e32 v4, s10
	v_mov_b32_e32 v5, s11
	s_addc_u32 s7, s7, 0
	v_cmp_ge_u64_e32 vcc, s[14:15], v[4:5]
	s_add_u32 s16, s16, 8
	s_addc_u32 s17, s17, 0
	s_cbranch_vccnz .LBB0_8
; %bb.7:                                ;   in Loop: Header=BB0_2 Depth=1
	v_mov_b32_e32 v5, v7
	v_mov_b32_e32 v6, v8
	s_branch .LBB0_2
.LBB0_8:
	s_lshl_b64 s[0:1], s[10:11], 3
	s_add_u32 s0, s2, s0
	s_addc_u32 s1, s3, s1
	s_load_dwordx2 s[2:3], s[0:1], 0x0
	s_load_dwordx2 s[6:7], s[4:5], 0x20
	v_mov_b32_e32 v26, 0
	s_movk_i32 s4, 0x44
	v_mov_b32_e32 v27, 0
	s_waitcnt lgkmcnt(0)
	v_mad_u64_u32 v[1:2], s[0:1], s2, v7, v[1:2]
	v_mul_lo_u32 v3, s2, v8
	v_mul_lo_u32 v4, s3, v7
	s_mov_b32 s0, 0x3c3c3c4
	v_mul_hi_u32 v5, v0, s0
	v_cmp_gt_u64_e64 s[0:1], s[6:7], v[7:8]
	v_add3_u32 v2, v4, v2, v3
	v_lshlrev_b64 v[2:3], 3, v[1:2]
	v_mul_u32_u24_e32 v4, 0x44, v5
	v_sub_u32_e32 v0, v0, v4
                                        ; implicit-def: $vgpr33
                                        ; implicit-def: $vgpr29
                                        ; implicit-def: $vgpr23
                                        ; implicit-def: $vgpr21
                                        ; implicit-def: $vgpr17
                                        ; implicit-def: $vgpr13
                                        ; implicit-def: $vgpr9
                                        ; implicit-def: $vgpr5
                                        ; implicit-def: $vgpr11
                                        ; implicit-def: $vgpr19
                                        ; implicit-def: $vgpr31
                                        ; implicit-def: $vgpr37
                                        ; implicit-def: $vgpr35
                                        ; implicit-def: $vgpr25
                                        ; implicit-def: $vgpr15
                                        ; implicit-def: $vgpr7
	s_and_saveexec_b64 s[2:3], s[0:1]
	s_cbranch_execz .LBB0_10
; %bb.9:
	v_mov_b32_e32 v1, 0
	v_mov_b32_e32 v4, s13
	v_add_co_u32_e32 v6, vcc, s12, v2
	v_addc_co_u32_e32 v7, vcc, v4, v3, vcc
	v_lshlrev_b64 v[4:5], 3, v[0:1]
	s_movk_i32 s5, 0x1000
	v_add_co_u32_e32 v39, vcc, v6, v4
	v_addc_co_u32_e32 v40, vcc, v7, v5, vcc
	v_add_co_u32_e32 v41, vcc, s5, v39
	v_addc_co_u32_e32 v42, vcc, 0, v40, vcc
	v_add_co_u32_e32 v43, vcc, 0x2000, v39
	global_load_dwordx2 v[26:27], v[39:40], off
	global_load_dwordx2 v[32:33], v[39:40], off offset:544
	global_load_dwordx2 v[28:29], v[39:40], off offset:1088
	;; [unrolled: 1-line block ×3, first 2 shown]
	v_addc_co_u32_e32 v44, vcc, 0, v40, vcc
	global_load_dwordx2 v[20:21], v[39:40], off offset:2176
	global_load_dwordx2 v[16:17], v[39:40], off offset:2720
	;; [unrolled: 1-line block ×13, first 2 shown]
.LBB0_10:
	s_or_b64 exec, exec, s[2:3]
	s_mov_b32 s2, 0xaaaaaaab
	v_mul_hi_u32 v1, v38, s2
	s_waitcnt vmcnt(15)
	v_add_f32_e32 v39, v32, v26
	s_waitcnt vmcnt(14)
	v_add_f32_e32 v39, v28, v39
	s_waitcnt vmcnt(0)
	v_sub_f32_e32 v40, v33, v37
	v_lshrrev_b32_e32 v1, 1, v1
	v_add_f32_e32 v39, v22, v39
	v_lshl_add_u32 v1, v1, 1, v1
	v_mul_f32_e32 v41, 0xbeb8f4ab, v40
	v_mul_f32_e32 v43, 0xbf2c7751, v40
	;; [unrolled: 1-line block ×8, first 2 shown]
	v_sub_u32_e32 v1, v38, v1
	v_add_f32_e32 v38, v20, v39
	v_add_f32_e32 v39, v32, v36
	s_mov_b32 s14, 0x3f6eb680
	v_mov_b32_e32 v42, v41
	s_mov_b32 s10, 0x3f3d2fb0
	v_mov_b32_e32 v44, v43
	s_mov_b32 s7, 0x3ee437d1
	v_mov_b32_e32 v46, v45
	s_mov_b32 s6, 0x3dbcf732
	v_mov_b32_e32 v48, v47
	s_mov_b32 s11, 0xbe8c1d8e
	v_mov_b32_e32 v50, v49
	s_mov_b32 s15, 0xbf1a4643
	v_mov_b32_e32 v52, v51
	s_mov_b32 s16, 0xbf59a7d5
	v_mov_b32_e32 v54, v53
	s_mov_b32 s17, 0xbf7ba420
	v_mov_b32_e32 v55, v40
	v_fmac_f32_e32 v42, 0x3f6eb680, v39
	v_fma_f32 v41, v39, s14, -v41
	v_fmac_f32_e32 v44, 0x3f3d2fb0, v39
	v_fma_f32 v43, v39, s10, -v43
	v_fmac_f32_e32 v46, 0x3ee437d1, v39
	v_fma_f32 v45, v39, s7, -v45
	v_fmac_f32_e32 v48, 0x3dbcf732, v39
	v_fma_f32 v47, v39, s6, -v47
	v_fmac_f32_e32 v50, 0xbe8c1d8e, v39
	v_fma_f32 v49, v39, s11, -v49
	v_fmac_f32_e32 v52, 0xbf1a4643, v39
	v_fma_f32 v51, v39, s15, -v51
	v_fmac_f32_e32 v54, 0xbf59a7d5, v39
	v_fma_f32 v53, v39, s16, -v53
	v_fmac_f32_e32 v55, 0xbf7ba420, v39
	v_fma_f32 v39, v39, s17, -v40
	v_sub_f32_e32 v40, v29, v35
	v_add_f32_e32 v42, v42, v26
	v_add_f32_e32 v41, v41, v26
	;; [unrolled: 1-line block ×17, first 2 shown]
	v_mul_f32_e32 v56, 0xbf2c7751, v40
	v_mov_b32_e32 v57, v56
	v_fma_f32 v56, v39, s10, -v56
	v_fmac_f32_e32 v57, 0x3f3d2fb0, v39
	v_add_f32_e32 v41, v56, v41
	v_mul_f32_e32 v56, 0xbf7ee86f, v40
	v_add_f32_e32 v42, v57, v42
	v_mov_b32_e32 v57, v56
	v_fma_f32 v56, v39, s6, -v56
	v_fmac_f32_e32 v57, 0x3dbcf732, v39
	v_add_f32_e32 v43, v56, v43
	v_mul_f32_e32 v56, 0xbf4c4adb, v40
	v_add_f32_e32 v44, v57, v44
	v_mov_b32_e32 v57, v56
	v_fma_f32 v56, v39, s15, -v56
	v_fmac_f32_e32 v57, 0xbf1a4643, v39
	v_add_f32_e32 v45, v56, v45
	v_mul_f32_e32 v56, 0xbe3c28d5, v40
	v_add_f32_e32 v46, v57, v46
	v_mov_b32_e32 v57, v56
	v_fma_f32 v56, v39, s17, -v56
	v_fmac_f32_e32 v57, 0xbf7ba420, v39
	v_add_f32_e32 v47, v56, v47
	v_mul_f32_e32 v56, 0x3f06c442, v40
	v_add_f32_e32 v48, v57, v48
	v_mov_b32_e32 v57, v56
	v_fma_f32 v56, v39, s16, -v56
	v_fmac_f32_e32 v57, 0xbf59a7d5, v39
	v_add_f32_e32 v49, v56, v49
	v_mul_f32_e32 v56, 0x3f763a35, v40
	v_add_f32_e32 v50, v57, v50
	v_mov_b32_e32 v57, v56
	v_fma_f32 v56, v39, s11, -v56
	v_fmac_f32_e32 v57, 0xbe8c1d8e, v39
	v_add_f32_e32 v51, v56, v51
	v_mul_f32_e32 v56, 0x3f65296c, v40
	v_add_f32_e32 v52, v57, v52
	v_mov_b32_e32 v57, v56
	v_fma_f32 v56, v39, s7, -v56
	v_mul_f32_e32 v40, 0x3eb8f4ab, v40
	v_add_f32_e32 v53, v56, v53
	v_mov_b32_e32 v56, v40
	v_fmac_f32_e32 v57, 0x3ee437d1, v39
	v_fmac_f32_e32 v56, 0x3f6eb680, v39
	v_fma_f32 v39, v39, s14, -v40
	v_sub_f32_e32 v40, v23, v31
	v_add_f32_e32 v55, v56, v55
	v_add_f32_e32 v26, v39, v26
	v_add_f32_e32 v39, v22, v30
	v_mul_f32_e32 v56, 0xbf65296c, v40
	v_add_f32_e32 v54, v57, v54
	v_mov_b32_e32 v57, v56
	v_fma_f32 v56, v39, s7, -v56
	v_fmac_f32_e32 v57, 0x3ee437d1, v39
	v_add_f32_e32 v41, v56, v41
	v_mul_f32_e32 v56, 0xbf4c4adb, v40
	v_add_f32_e32 v42, v57, v42
	v_mov_b32_e32 v57, v56
	v_fma_f32 v56, v39, s15, -v56
	v_fmac_f32_e32 v57, 0xbf1a4643, v39
	v_add_f32_e32 v43, v56, v43
	v_mul_f32_e32 v56, 0x3e3c28d5, v40
	v_add_f32_e32 v44, v57, v44
	v_mov_b32_e32 v57, v56
	v_fma_f32 v56, v39, s17, -v56
	v_fmac_f32_e32 v57, 0xbf7ba420, v39
	v_add_f32_e32 v45, v56, v45
	v_mul_f32_e32 v56, 0x3f763a35, v40
	v_add_f32_e32 v46, v57, v46
	v_mov_b32_e32 v57, v56
	v_fma_f32 v56, v39, s11, -v56
	v_fmac_f32_e32 v57, 0xbe8c1d8e, v39
	v_add_f32_e32 v47, v56, v47
	v_mul_f32_e32 v56, 0x3f2c7751, v40
	v_add_f32_e32 v48, v57, v48
	v_mov_b32_e32 v57, v56
	v_fma_f32 v56, v39, s10, -v56
	v_fmac_f32_e32 v57, 0x3f3d2fb0, v39
	v_add_f32_e32 v49, v56, v49
	v_mul_f32_e32 v56, 0xbeb8f4ab, v40
	v_add_f32_e32 v50, v57, v50
	v_mov_b32_e32 v57, v56
	v_fma_f32 v56, v39, s14, -v56
	v_fmac_f32_e32 v57, 0x3f6eb680, v39
	v_add_f32_e32 v51, v56, v51
	v_mul_f32_e32 v56, 0xbf7ee86f, v40
	v_add_f32_e32 v52, v57, v52
	v_mov_b32_e32 v57, v56
	v_fma_f32 v56, v39, s6, -v56
	v_mul_f32_e32 v40, 0xbf06c442, v40
	v_add_f32_e32 v53, v56, v53
	v_mov_b32_e32 v56, v40
	v_fmac_f32_e32 v57, 0x3dbcf732, v39
	v_fmac_f32_e32 v56, 0xbf59a7d5, v39
	v_fma_f32 v39, v39, s16, -v40
	v_sub_f32_e32 v40, v21, v25
	v_add_f32_e32 v55, v56, v55
	v_add_f32_e32 v26, v39, v26
	v_add_f32_e32 v39, v20, v24
	v_mul_f32_e32 v56, 0xbf7ee86f, v40
	v_add_f32_e32 v54, v57, v54
	;; [unrolled: 50-line block ×6, first 2 shown]
	v_mov_b32_e32 v57, v55
	v_fma_f32 v55, v39, s17, -v55
	v_fmac_f32_e32 v57, 0xbf7ba420, v39
	v_add_f32_e32 v55, v55, v41
	v_mul_f32_e32 v41, 0x3eb8f4ab, v40
	v_add_f32_e32 v42, v57, v42
	v_mov_b32_e32 v57, v41
	v_fma_f32 v41, v39, s14, -v41
	v_fmac_f32_e32 v57, 0x3f6eb680, v39
	v_add_f32_e32 v41, v41, v43
	v_mul_f32_e32 v43, 0xbf06c442, v40
	v_add_f32_e32 v44, v57, v44
	;; [unrolled: 6-line block ×3, first 2 shown]
	v_add_f32_e32 v46, v57, v46
	v_mov_b32_e32 v57, v45
	v_fma_f32 v45, v39, s10, -v45
	v_add_f32_e32 v38, v12, v38
	v_fmac_f32_e32 v57, 0x3f3d2fb0, v39
	v_add_f32_e32 v45, v45, v47
	v_mul_f32_e32 v47, 0xbf4c4adb, v40
	v_add_f32_e32 v38, v8, v38
	v_add_f32_e32 v48, v57, v48
	v_mov_b32_e32 v57, v47
	v_fma_f32 v47, v39, s15, -v47
	v_add_f32_e32 v38, v4, v38
	v_fmac_f32_e32 v57, 0xbf1a4643, v39
	v_add_f32_e32 v47, v47, v49
	v_mul_f32_e32 v49, 0x3f65296c, v40
	v_add_f32_e32 v38, v6, v38
	;; [unrolled: 8-line block ×3, first 2 shown]
	v_add_f32_e32 v52, v57, v52
	v_mov_b32_e32 v57, v51
	v_fma_f32 v51, v39, s11, -v51
	v_mul_f32_e32 v40, 0x3f7ee86f, v40
	v_add_f32_e32 v38, v18, v38
	v_add_f32_e32 v51, v51, v53
	v_mov_b32_e32 v53, v40
	v_mul_u32_u24_e32 v1, 0x484, v1
	v_add_f32_e32 v38, v24, v38
	v_fmac_f32_e32 v53, 0x3dbcf732, v39
	v_add_f32_e32 v38, v30, v38
	v_add_f32_e32 v56, v53, v56
	v_lshlrev_b32_e32 v53, 2, v1
	v_add_f32_e32 v38, v34, v38
	v_fmac_f32_e32 v57, 0xbe8c1d8e, v39
	v_fma_f32 v39, v39, s6, -v40
	v_add_u32_e32 v1, 0, v53
	v_add_f32_e32 v38, v36, v38
	v_add_f32_e32 v39, v39, v26
	v_mad_u32_u24 v26, v0, s4, v1
	v_add_f32_e32 v54, v57, v54
	ds_write2_b32 v26, v38, v42 offset1:1
	ds_write2_b32 v26, v44, v46 offset0:2 offset1:3
	ds_write2_b32 v26, v48, v50 offset0:4 offset1:5
	;; [unrolled: 1-line block ×7, first 2 shown]
	ds_write_b32 v26, v55 offset:64
	v_lshlrev_b32_e32 v38, 2, v0
	v_add_u32_e32 v52, v1, v38
	v_add3_u32 v1, 0, v38, v53
	v_add_u32_e32 v54, 0x600, v1
	v_add_u32_e32 v59, 0x800, v1
	;; [unrolled: 1-line block ×5, first 2 shown]
	s_waitcnt lgkmcnt(0)
	s_barrier
	ds_read2_b32 v[44:45], v54 offset0:92 offset1:194
	ds_read2_b32 v[46:47], v1 offset0:68 offset1:136
	;; [unrolled: 1-line block ×7, first 2 shown]
	ds_read_b32 v58, v52
	ds_read_b32 v56, v1 offset:4216
	v_cmp_gt_u32_e64 s[2:3], 34, v0
                                        ; implicit-def: $vgpr57
	s_and_saveexec_b64 s[4:5], s[2:3]
	s_cbranch_execz .LBB0_12
; %bb.11:
	ds_read_b32 v55, v1 offset:2176
	ds_read_b32 v57, v1 offset:4488
.LBB0_12:
	s_or_b64 exec, exec, s[4:5]
	v_add_f32_e32 v63, v33, v27
	v_add_f32_e32 v63, v29, v63
	v_add_f32_e32 v63, v23, v63
	v_add_f32_e32 v63, v21, v63
	v_add_f32_e32 v63, v17, v63
	v_add_f32_e32 v63, v13, v63
	v_add_f32_e32 v63, v9, v63
	v_add_f32_e32 v63, v5, v63
	v_add_f32_e32 v63, v7, v63
	v_add_f32_e32 v63, v11, v63
	v_add_f32_e32 v63, v15, v63
	v_add_f32_e32 v63, v19, v63
	v_add_f32_e32 v63, v25, v63
	v_add_f32_e32 v63, v31, v63
	v_add_f32_e32 v63, v35, v63
	v_sub_f32_e32 v32, v32, v36
	v_add_f32_e32 v64, v37, v63
	v_add_f32_e32 v33, v33, v37
	v_mul_f32_e32 v36, 0xbeb8f4ab, v32
	v_mul_f32_e32 v63, 0xbf2c7751, v32
	;; [unrolled: 1-line block ×8, first 2 shown]
	v_fma_f32 v37, v33, s14, -v36
	v_fmac_f32_e32 v36, 0x3f6eb680, v33
	v_fma_f32 v65, v33, s10, -v63
	v_fmac_f32_e32 v63, 0x3f3d2fb0, v33
	;; [unrolled: 2-line block ×8, first 2 shown]
	v_sub_f32_e32 v28, v28, v34
	v_add_f32_e32 v37, v37, v27
	v_add_f32_e32 v36, v36, v27
	;; [unrolled: 1-line block ×17, first 2 shown]
	v_mul_f32_e32 v32, 0xbf2c7751, v28
	v_fma_f32 v33, v29, s10, -v32
	v_fmac_f32_e32 v32, 0x3f3d2fb0, v29
	v_mul_f32_e32 v34, 0xbf7ee86f, v28
	v_add_f32_e32 v32, v32, v36
	v_fma_f32 v35, v29, s6, -v34
	v_fmac_f32_e32 v34, 0x3dbcf732, v29
	v_mul_f32_e32 v36, 0xbf4c4adb, v28
	v_add_f32_e32 v33, v33, v37
	v_add_f32_e32 v34, v34, v63
	v_fma_f32 v37, v29, s15, -v36
	v_fmac_f32_e32 v36, 0xbf1a4643, v29
	v_mul_f32_e32 v63, 0xbe3c28d5, v28
	v_add_f32_e32 v35, v35, v65
	;; [unrolled: 5-line block ×4, first 2 shown]
	v_add_f32_e32 v66, v66, v70
	v_fma_f32 v69, v29, s11, -v68
	v_fmac_f32_e32 v68, 0xbe8c1d8e, v29
	v_mul_f32_e32 v70, 0x3f65296c, v28
	v_mul_f32_e32 v28, 0x3eb8f4ab, v28
	v_add_f32_e32 v68, v68, v72
	v_fma_f32 v72, v29, s14, -v28
	v_fmac_f32_e32 v28, 0x3f6eb680, v29
	v_sub_f32_e32 v22, v22, v30
	v_add_f32_e32 v27, v28, v27
	v_add_f32_e32 v23, v23, v31
	v_mul_f32_e32 v28, 0xbf65296c, v22
	v_add_f32_e32 v67, v67, v71
	v_fma_f32 v71, v29, s7, -v70
	v_fmac_f32_e32 v70, 0x3ee437d1, v29
	v_fma_f32 v29, v23, s7, -v28
	v_fmac_f32_e32 v28, 0x3ee437d1, v23
	v_mul_f32_e32 v30, 0xbf4c4adb, v22
	v_add_f32_e32 v28, v28, v32
	v_fma_f32 v31, v23, s15, -v30
	v_fmac_f32_e32 v30, 0xbf1a4643, v23
	v_mul_f32_e32 v32, 0x3e3c28d5, v22
	v_add_f32_e32 v29, v29, v33
	v_add_f32_e32 v30, v30, v34
	v_fma_f32 v33, v23, s17, -v32
	v_fmac_f32_e32 v32, 0xbf7ba420, v23
	v_mul_f32_e32 v34, 0x3f763a35, v22
	v_add_f32_e32 v31, v31, v35
	;; [unrolled: 5-line block ×4, first 2 shown]
	v_add_f32_e32 v36, v36, v66
	v_fma_f32 v65, v23, s14, -v63
	v_fmac_f32_e32 v63, 0x3f6eb680, v23
	v_mul_f32_e32 v66, 0xbf7ee86f, v22
	v_mul_f32_e32 v22, 0xbf06c442, v22
	v_sub_f32_e32 v20, v20, v24
	v_add_f32_e32 v37, v37, v67
	v_add_f32_e32 v63, v63, v68
	v_fma_f32 v67, v23, s6, -v66
	v_fmac_f32_e32 v66, 0x3dbcf732, v23
	v_fma_f32 v68, v23, s16, -v22
	v_fmac_f32_e32 v22, 0xbf59a7d5, v23
	v_add_f32_e32 v21, v21, v25
	v_mul_f32_e32 v23, 0xbf7ee86f, v20
	v_fma_f32 v24, v21, s6, -v23
	v_fmac_f32_e32 v23, 0x3dbcf732, v21
	v_mul_f32_e32 v25, 0xbe3c28d5, v20
	v_add_f32_e32 v22, v22, v27
	v_add_f32_e32 v23, v23, v28
	v_fma_f32 v27, v21, s17, -v25
	v_fmac_f32_e32 v25, 0xbf7ba420, v21
	v_mul_f32_e32 v28, 0x3f763a35, v20
	v_add_f32_e32 v24, v24, v29
	v_add_f32_e32 v25, v25, v30
	v_fma_f32 v29, v21, s11, -v28
	v_fmac_f32_e32 v28, 0xbe8c1d8e, v21
	v_mul_f32_e32 v30, 0x3eb8f4ab, v20
	v_add_f32_e32 v27, v27, v31
	v_add_f32_e32 v28, v28, v32
	v_fma_f32 v31, v21, s14, -v30
	v_fmac_f32_e32 v30, 0x3f6eb680, v21
	v_mul_f32_e32 v32, 0xbf65296c, v20
	v_add_f32_e32 v29, v29, v33
	v_add_f32_e32 v30, v30, v34
	v_fma_f32 v33, v21, s7, -v32
	v_fmac_f32_e32 v32, 0x3ee437d1, v21
	v_mul_f32_e32 v34, 0xbf06c442, v20
	v_sub_f32_e32 v16, v16, v18
	v_add_f32_e32 v31, v31, v35
	v_add_f32_e32 v32, v32, v36
	v_fma_f32 v35, v21, s16, -v34
	v_fmac_f32_e32 v34, 0xbf59a7d5, v21
	v_mul_f32_e32 v36, 0x3f4c4adb, v20
	v_mul_f32_e32 v20, 0x3f2c7751, v20
	v_add_f32_e32 v17, v17, v19
	v_mul_f32_e32 v18, 0xbf763a35, v16
	v_add_f32_e32 v33, v33, v37
	v_add_f32_e32 v34, v34, v63
	v_fma_f32 v37, v21, s15, -v36
	v_fmac_f32_e32 v36, 0xbf1a4643, v21
	v_fma_f32 v63, v21, s10, -v20
	v_fmac_f32_e32 v20, 0x3f3d2fb0, v21
	v_fma_f32 v19, v17, s11, -v18
	v_fmac_f32_e32 v18, 0xbe8c1d8e, v17
	v_mul_f32_e32 v21, 0x3f06c442, v16
	v_add_f32_e32 v20, v20, v22
	v_add_f32_e32 v18, v18, v23
	v_fma_f32 v22, v17, s16, -v21
	v_fmac_f32_e32 v21, 0xbf59a7d5, v17
	v_mul_f32_e32 v23, 0x3f2c7751, v16
	v_add_f32_e32 v19, v19, v24
	v_add_f32_e32 v21, v21, v25
	v_fma_f32 v24, v17, s10, -v23
	v_fmac_f32_e32 v23, 0x3f3d2fb0, v17
	v_mul_f32_e32 v25, 0xbf65296c, v16
	v_add_f32_e32 v22, v22, v27
	v_add_f32_e32 v23, v23, v28
	v_fma_f32 v27, v17, s7, -v25
	v_fmac_f32_e32 v25, 0x3ee437d1, v17
	v_mul_f32_e32 v28, 0xbe3c28d5, v16
	v_add_f32_e32 v24, v24, v29
	v_add_f32_e32 v25, v25, v30
	v_fma_f32 v29, v17, s17, -v28
	v_fmac_f32_e32 v28, 0xbf7ba420, v17
	v_mul_f32_e32 v30, 0x3f7ee86f, v16
	v_sub_f32_e32 v12, v12, v14
	v_add_f32_e32 v27, v27, v31
	v_add_f32_e32 v28, v28, v32
	v_fma_f32 v31, v17, s6, -v30
	v_fmac_f32_e32 v30, 0x3dbcf732, v17
	v_mul_f32_e32 v32, 0xbeb8f4ab, v16
	v_mul_f32_e32 v16, 0xbf4c4adb, v16
	v_add_f32_e32 v13, v13, v15
	v_mul_f32_e32 v14, 0xbf4c4adb, v12
	v_add_f32_e32 v29, v29, v33
	v_add_f32_e32 v30, v30, v34
	v_fma_f32 v33, v17, s14, -v32
	v_fmac_f32_e32 v32, 0x3f6eb680, v17
	v_fma_f32 v34, v17, s15, -v16
	v_fmac_f32_e32 v16, 0xbf1a4643, v17
	v_fma_f32 v15, v13, s15, -v14
	v_fmac_f32_e32 v14, 0xbf1a4643, v13
	v_mul_f32_e32 v17, 0x3f763a35, v12
	v_add_f32_e32 v15, v15, v19
	v_add_f32_e32 v14, v14, v18
	v_fma_f32 v18, v13, s11, -v17
	v_fmac_f32_e32 v17, 0xbe8c1d8e, v13
	v_mul_f32_e32 v19, 0xbeb8f4ab, v12
	v_add_f32_e32 v16, v16, v20
	v_add_f32_e32 v17, v17, v21
	v_fma_f32 v20, v13, s14, -v19
	v_fmac_f32_e32 v19, 0x3f6eb680, v13
	v_mul_f32_e32 v21, 0xbf06c442, v12
	v_add_f32_e32 v18, v18, v22
	v_add_f32_e32 v19, v19, v23
	v_fma_f32 v22, v13, s16, -v21
	v_fmac_f32_e32 v21, 0xbf59a7d5, v13
	v_mul_f32_e32 v23, 0x3f7ee86f, v12
	v_add_f32_e32 v20, v20, v24
	v_add_f32_e32 v21, v21, v25
	v_fma_f32 v24, v13, s6, -v23
	v_fmac_f32_e32 v23, 0x3dbcf732, v13
	v_mul_f32_e32 v25, 0xbf2c7751, v12
	v_sub_f32_e32 v8, v8, v10
	v_add_f32_e32 v22, v22, v27
	v_add_f32_e32 v23, v23, v28
	v_fma_f32 v27, v13, s10, -v25
	v_fmac_f32_e32 v25, 0x3f3d2fb0, v13
	v_mul_f32_e32 v28, 0xbe3c28d5, v12
	v_mul_f32_e32 v12, 0x3f65296c, v12
	v_add_f32_e32 v9, v9, v11
	v_mul_f32_e32 v10, 0xbf06c442, v8
	v_add_f32_e32 v24, v24, v29
	v_add_f32_e32 v25, v25, v30
	v_fma_f32 v29, v13, s17, -v28
	v_fmac_f32_e32 v28, 0xbf7ba420, v13
	v_fma_f32 v30, v13, s7, -v12
	v_fmac_f32_e32 v12, 0x3ee437d1, v13
	v_fma_f32 v11, v9, s16, -v10
	v_fmac_f32_e32 v10, 0xbf59a7d5, v9
	v_mul_f32_e32 v13, 0x3f65296c, v8
	v_add_f32_e32 v11, v11, v15
	v_add_f32_e32 v10, v10, v14
	v_fma_f32 v14, v9, s7, -v13
	v_fmac_f32_e32 v13, 0x3ee437d1, v9
	v_mul_f32_e32 v15, 0xbf7ee86f, v8
	v_add_f32_e32 v12, v12, v16
	v_add_f32_e32 v13, v13, v17
	;; [unrolled: 5-line block ×3, first 2 shown]
	v_add_f32_e32 v15, v15, v19
	v_fma_f32 v18, v9, s15, -v17
	v_fmac_f32_e32 v17, 0xbf1a4643, v9
	v_mul_f32_e32 v19, 0xbeb8f4ab, v8
	v_sub_f32_e32 v4, v4, v6
	v_add_f32_e32 v68, v68, v72
	v_add_f32_e32 v16, v16, v20
	;; [unrolled: 1-line block ×3, first 2 shown]
	v_fma_f32 v20, v9, s14, -v19
	v_fmac_f32_e32 v19, 0x3f6eb680, v9
	v_mul_f32_e32 v21, 0xbe3c28d5, v8
	v_add_f32_e32 v5, v5, v7
	v_mul_f32_e32 v6, 0xbe3c28d5, v4
	v_add_f32_e32 v69, v69, v73
	v_add_f32_e32 v63, v63, v68
	;; [unrolled: 1-line block ×4, first 2 shown]
	v_fma_f32 v22, v9, s17, -v21
	v_fmac_f32_e32 v21, 0xbf7ba420, v9
	v_mul_f32_e32 v23, 0x3f2c7751, v8
	v_mul_f32_e32 v8, 0xbf763a35, v8
	v_fma_f32 v7, v5, s17, -v6
	v_fmac_f32_e32 v6, 0xbf7ba420, v5
	v_add_f32_e32 v71, v71, v75
	v_add_f32_e32 v70, v70, v74
	;; [unrolled: 1-line block ×5, first 2 shown]
	v_fma_f32 v25, v9, s11, -v8
	v_fmac_f32_e32 v8, 0xbe8c1d8e, v9
	v_add_f32_e32 v63, v6, v10
	v_mul_f32_e32 v6, 0x3eb8f4ab, v4
	v_add_f32_e32 v67, v67, v71
	v_add_f32_e32 v66, v66, v70
	;; [unrolled: 1-line block ×4, first 2 shown]
	v_fma_f32 v24, v9, s10, -v23
	v_fmac_f32_e32 v23, 0x3f3d2fb0, v9
	v_add_f32_e32 v8, v8, v12
	v_fma_f32 v9, v5, s14, -v6
	v_fmac_f32_e32 v6, 0x3f6eb680, v5
	v_mul_f32_e32 v10, 0xbf06c442, v4
	v_mul_f32_e32 v12, 0x3f2c7751, v4
	v_add_f32_e32 v37, v37, v67
	v_add_f32_e32 v36, v36, v66
	;; [unrolled: 1-line block ×6, first 2 shown]
	v_fma_f32 v11, v5, s16, -v10
	v_fmac_f32_e32 v10, 0xbf59a7d5, v5
	v_fma_f32 v13, v5, s10, -v12
	v_mul_f32_e32 v14, 0xbf4c4adb, v4
	v_add_f32_e32 v33, v33, v37
	v_add_f32_e32 v32, v32, v36
	;; [unrolled: 1-line block ×6, first 2 shown]
	v_fmac_f32_e32 v12, 0x3f3d2fb0, v5
	v_fma_f32 v15, v5, s15, -v14
	v_mul_f32_e32 v16, 0x3f65296c, v4
	v_mul_f32_e32 v18, 0xbf763a35, v4
	;; [unrolled: 1-line block ×3, first 2 shown]
	v_add_f32_e32 v29, v29, v33
	v_add_f32_e32 v28, v28, v32
	;; [unrolled: 1-line block ×6, first 2 shown]
	v_fmac_f32_e32 v14, 0xbf1a4643, v5
	v_fma_f32 v17, v5, s7, -v16
	v_fmac_f32_e32 v16, 0x3ee437d1, v5
	v_fma_f32 v20, v5, s6, -v4
	v_fmac_f32_e32 v4, 0x3dbcf732, v5
	v_add_f32_e32 v24, v24, v29
	v_add_f32_e32 v23, v23, v28
	;; [unrolled: 1-line block ×6, first 2 shown]
	v_fma_f32 v19, v5, s11, -v18
	v_fmac_f32_e32 v18, 0xbe8c1d8e, v5
	v_add_f32_e32 v4, v4, v8
	v_add_f32_e32 v19, v19, v24
	v_add_f32_e32 v18, v18, v23
	v_add_f32_e32 v20, v20, v25
	s_waitcnt lgkmcnt(0)
	s_barrier
	ds_write2_b32 v26, v64, v7 offset1:1
	ds_write2_b32 v26, v9, v11 offset0:2 offset1:3
	ds_write2_b32 v26, v13, v15 offset0:4 offset1:5
	;; [unrolled: 1-line block ×7, first 2 shown]
	ds_write_b32 v26, v63 offset:64
	s_waitcnt lgkmcnt(0)
	s_barrier
	ds_read2_b32 v[4:5], v54 offset0:92 offset1:194
	ds_read2_b32 v[10:11], v1 offset0:68 offset1:136
	;; [unrolled: 1-line block ×7, first 2 shown]
	ds_read_b32 v59, v52
	ds_read_b32 v60, v1 offset:4216
                                        ; implicit-def: $vgpr61
	s_and_saveexec_b64 s[4:5], s[2:3]
	s_cbranch_execz .LBB0_14
; %bb.13:
	ds_read_b32 v63, v1 offset:2176
	ds_read_b32 v61, v1 offset:4488
.LBB0_14:
	s_or_b64 exec, exec, s[4:5]
	s_movk_i32 s4, 0xf1
	v_add_u16_e32 v20, 0x44, v0
	v_mul_lo_u16_sdwa v21, v20, s4 dst_sel:DWORD dst_unused:UNUSED_PAD src0_sel:BYTE_0 src1_sel:DWORD
	v_lshrrev_b16_e32 v65, 12, v21
	v_mul_lo_u16_e32 v21, 17, v65
	v_sub_u16_e32 v66, v20, v21
	v_add_u16_e32 v20, 0x88, v0
	v_mul_lo_u16_sdwa v19, v0, s4 dst_sel:DWORD dst_unused:UNUSED_PAD src0_sel:BYTE_0 src1_sel:DWORD
	v_mul_lo_u16_sdwa v21, v20, s4 dst_sel:DWORD dst_unused:UNUSED_PAD src0_sel:BYTE_0 src1_sel:DWORD
	v_lshrrev_b16_e32 v62, 12, v19
	v_lshrrev_b16_e32 v67, 12, v21
	v_mul_lo_u16_e32 v19, 17, v62
	v_mul_lo_u16_e32 v21, 17, v67
	v_add_u32_e32 v18, 0xcc, v0
	v_sub_u16_e32 v64, v0, v19
	v_mov_b32_e32 v19, 3
	v_sub_u16_e32 v68, v20, v21
	s_mov_b32 s4, 0xf0f1
	v_lshlrev_b32_sdwa v28, v19, v64 dst_sel:DWORD dst_unused:UNUSED_PAD src0_sel:DWORD src1_sel:BYTE_0
	v_lshlrev_b32_sdwa v29, v19, v66 dst_sel:DWORD dst_unused:UNUSED_PAD src0_sel:DWORD src1_sel:BYTE_0
	;; [unrolled: 1-line block ×3, first 2 shown]
	v_mul_u32_u24_sdwa v19, v18, s4 dst_sel:DWORD dst_unused:UNUSED_PAD src0_sel:WORD_0 src1_sel:DWORD
	v_lshrrev_b32_e32 v69, 20, v19
	v_mul_lo_u16_e32 v19, 17, v69
	v_add_u32_e32 v26, 0x110, v0
	v_sub_u16_e32 v70, v18, v19
	v_lshlrev_b32_e32 v31, 3, v70
	global_load_dwordx2 v[24:25], v28, s[8:9]
	global_load_dwordx2 v[22:23], v29, s[8:9]
	;; [unrolled: 1-line block ×4, first 2 shown]
	v_mul_u32_u24_sdwa v28, v26, s4 dst_sel:DWORD dst_unused:UNUSED_PAD src0_sel:WORD_0 src1_sel:DWORD
	v_lshrrev_b32_e32 v71, 20, v28
	v_add_u32_e32 v27, 0x154, v0
	v_mul_lo_u16_e32 v28, 17, v71
	v_sub_u16_e32 v72, v26, v28
	v_mul_u32_u24_sdwa v26, v27, s4 dst_sel:DWORD dst_unused:UNUSED_PAD src0_sel:WORD_0 src1_sel:DWORD
	v_lshrrev_b32_e32 v73, 20, v26
	v_add_u32_e32 v36, 0x198, v0
	v_mul_lo_u16_e32 v26, 17, v73
	v_sub_u16_e32 v74, v27, v26
	v_mul_u32_u24_sdwa v26, v36, s4 dst_sel:DWORD dst_unused:UNUSED_PAD src0_sel:WORD_0 src1_sel:DWORD
	v_lshrrev_b32_e32 v75, 20, v26
	v_mul_lo_u16_e32 v26, 17, v75
	v_lshlrev_b32_e32 v32, 3, v72
	v_sub_u16_e32 v76, v36, v26
	v_add_u32_e32 v37, 0x1dc, v0
	v_lshlrev_b32_e32 v33, 3, v74
	v_lshlrev_b32_e32 v34, 3, v76
	global_load_dwordx2 v[30:31], v32, s[8:9]
	global_load_dwordx2 v[28:29], v33, s[8:9]
	;; [unrolled: 1-line block ×3, first 2 shown]
	v_mul_u32_u24_sdwa v32, v37, s4 dst_sel:DWORD dst_unused:UNUSED_PAD src0_sel:WORD_0 src1_sel:DWORD
	v_lshrrev_b32_e32 v77, 20, v32
	v_mul_lo_u16_e32 v32, 17, v77
	v_sub_u16_e32 v78, v37, v32
	v_lshlrev_b32_e32 v32, 3, v78
	v_add_u32_e32 v54, 0x220, v0
	global_load_dwordx2 v[32:33], v32, s[8:9]
	v_mul_u32_u24_sdwa v34, v54, s4 dst_sel:DWORD dst_unused:UNUSED_PAD src0_sel:WORD_0 src1_sel:DWORD
	v_lshrrev_b32_e32 v79, 20, v34
	v_mul_lo_u16_e32 v34, 17, v79
	v_sub_u16_e32 v80, v54, v34
	v_lshlrev_b32_e32 v34, 3, v80
	global_load_dwordx2 v[34:35], v34, s[8:9]
	s_movk_i32 s4, 0x88
	v_mov_b32_e32 v81, 2
	v_mad_u32_u24 v62, v62, s4, 0
	v_mad_u32_u24 v65, v65, s4, 0
	v_lshlrev_b32_sdwa v64, v81, v64 dst_sel:DWORD dst_unused:UNUSED_PAD src0_sel:DWORD src1_sel:BYTE_0
	v_lshlrev_b32_sdwa v66, v81, v66 dst_sel:DWORD dst_unused:UNUSED_PAD src0_sel:DWORD src1_sel:BYTE_0
	v_add3_u32 v62, v62, v64, v53
	v_add3_u32 v64, v65, v66, v53
	s_waitcnt vmcnt(0) lgkmcnt(0)
	s_barrier
	v_mul_f32_e32 v65, v5, v25
	v_mul_f32_e32 v66, v16, v23
	v_fmac_f32_e32 v65, v45, v24
	v_fmac_f32_e32 v66, v40, v22
	v_sub_f32_e32 v65, v58, v65
	v_mul_f32_e32 v82, v17, v21
	v_sub_f32_e32 v66, v46, v66
	v_fma_f32 v58, v58, 2.0, -v65
	v_mul_f32_e32 v83, v14, v19
	v_fma_f32 v46, v46, 2.0, -v66
	ds_write2_b32 v62, v58, v65 offset1:17
	ds_write2_b32 v64, v46, v66 offset1:17
	v_fmac_f32_e32 v82, v41, v20
	v_fmac_f32_e32 v83, v42, v18
	v_sub_f32_e32 v46, v47, v82
	v_sub_f32_e32 v58, v48, v83
	v_fma_f32 v47, v47, 2.0, -v46
	v_fma_f32 v48, v48, 2.0, -v58
	v_mul_f32_e32 v84, v15, v31
	v_mul_f32_e32 v85, v12, v29
	v_fmac_f32_e32 v85, v38, v28
	v_mul_f32_e32 v86, v13, v27
	v_sub_f32_e32 v66, v50, v85
	v_fmac_f32_e32 v86, v39, v26
	v_fma_f32 v82, v50, 2.0, -v66
	v_fmac_f32_e32 v84, v43, v30
	v_sub_f32_e32 v83, v51, v86
	v_mul_f32_e32 v50, v60, v33
	v_fmac_f32_e32 v50, v56, v32
	v_sub_f32_e32 v65, v49, v84
	v_fma_f32 v84, v51, 2.0, -v83
	v_lshlrev_b32_sdwa v51, v81, v68 dst_sel:DWORD dst_unused:UNUSED_PAD src0_sel:DWORD src1_sel:BYTE_0
	v_sub_f32_e32 v81, v44, v50
	v_mad_u32_u24 v50, v67, s4, 0
	v_add3_u32 v50, v50, v51, v53
	ds_write2_b32 v50, v47, v46 offset1:17
	v_mad_u32_u24 v46, v69, s4, 0
	v_lshlrev_b32_e32 v47, 2, v70
	v_add3_u32 v51, v46, v47, v53
	v_mad_u32_u24 v46, v71, s4, 0
	v_lshlrev_b32_e32 v47, 2, v72
	v_fma_f32 v49, v49, 2.0, -v65
	v_mul_f32_e32 v68, v61, v35
	ds_write2_b32 v51, v48, v58 offset1:17
	v_add3_u32 v58, v46, v47, v53
	v_mad_u32_u24 v46, v73, s4, 0
	v_lshlrev_b32_e32 v47, 2, v74
	v_fmac_f32_e32 v68, v57, v34
	ds_write2_b32 v58, v49, v65 offset1:17
	v_add3_u32 v65, v46, v47, v53
	v_mad_u32_u24 v46, v75, s4, 0
	v_lshlrev_b32_e32 v47, 2, v76
	v_fma_f32 v67, v44, 2.0, -v81
	v_sub_f32_e32 v44, v55, v68
	v_add3_u32 v68, v46, v47, v53
	v_mad_u32_u24 v46, v77, s4, 0
	v_lshlrev_b32_e32 v47, 2, v78
	v_add3_u32 v69, v46, v47, v53
	ds_write2_b32 v65, v82, v66 offset1:17
	ds_write2_b32 v68, v84, v83 offset1:17
	ds_write2_b32 v69, v67, v81 offset1:17
	v_mul_lo_u16_e32 v66, 34, v79
	v_lshl_add_u32 v67, v80, 2, 0
	s_and_saveexec_b64 s[4:5], s[2:3]
	s_cbranch_execz .LBB0_16
; %bb.15:
	v_lshlrev_b32_e32 v47, 2, v66
	v_fma_f32 v46, v55, 2.0, -v44
	v_add3_u32 v47, v67, v47, v53
	ds_write2_b32 v47, v46, v44 offset1:17
.LBB0_16:
	s_or_b64 exec, exec, s[4:5]
	v_mul_f32_e32 v19, v42, v19
	v_fma_f32 v14, v14, v18, -v19
	v_mul_f32_e32 v18, v43, v31
	v_fma_f32 v15, v15, v30, -v18
	v_mul_f32_e32 v18, v38, v29
	v_mul_f32_e32 v23, v40, v23
	v_mul_f32_e32 v21, v41, v21
	v_fma_f32 v12, v12, v28, -v18
	v_mul_f32_e32 v18, v39, v27
	v_mul_f32_e32 v25, v45, v25
	v_fma_f32 v16, v16, v22, -v23
	v_fma_f32 v17, v17, v20, -v21
	;; [unrolled: 1-line block ×3, first 2 shown]
	v_mul_f32_e32 v18, v56, v33
	v_mul_f32_e32 v19, v57, v35
	v_fma_f32 v5, v5, v24, -v25
	v_fma_f32 v18, v60, v32, -v18
	;; [unrolled: 1-line block ×3, first 2 shown]
	v_sub_f32_e32 v25, v10, v16
	v_sub_f32_e32 v27, v11, v17
	;; [unrolled: 1-line block ×6, first 2 shown]
	v_add_u32_e32 v40, 0x200, v1
	v_add_u32_e32 v46, 0x400, v1
	v_add_u32_e32 v47, 0x600, v1
	v_add_u32_e32 v48, 0x800, v1
	v_add_u32_e32 v21, 0xa00, v1
	v_add_u32_e32 v49, 0xc00, v1
	v_add_u32_e32 v22, 0xe00, v1
	v_sub_f32_e32 v23, v59, v5
	v_fma_f32 v26, v10, 2.0, -v25
	v_fma_f32 v28, v11, 2.0, -v27
	;; [unrolled: 1-line block ×6, first 2 shown]
	v_sub_f32_e32 v42, v4, v18
	v_sub_f32_e32 v33, v63, v19
	s_waitcnt lgkmcnt(0)
	s_barrier
	ds_read_b32 v34, v52
	ds_read2_b32 v[19:20], v1 offset0:68 offset1:136
	ds_read2_b32 v[17:18], v40 offset0:76 offset1:144
	;; [unrolled: 1-line block ×8, first 2 shown]
	v_fma_f32 v24, v59, 2.0, -v23
	v_fma_f32 v4, v4, 2.0, -v42
	s_waitcnt lgkmcnt(0)
	s_barrier
	ds_write2_b32 v62, v24, v23 offset1:17
	ds_write2_b32 v64, v26, v25 offset1:17
	;; [unrolled: 1-line block ×8, first 2 shown]
	s_and_saveexec_b64 s[4:5], s[2:3]
	s_cbranch_execz .LBB0_18
; %bb.17:
	v_lshlrev_b32_e32 v23, 2, v66
	v_fma_f32 v4, v63, 2.0, -v33
	v_add3_u32 v23, v67, v23, v53
	ds_write2_b32 v23, v4, v33 offset1:17
.LBB0_18:
	s_or_b64 exec, exec, s[4:5]
	v_subrev_u32_e32 v4, 34, v0
	v_cndmask_b32_e64 v58, v4, v0, s[2:3]
	v_lshlrev_b32_e32 v23, 4, v58
	v_mov_b32_e32 v24, 0
	v_lshlrev_b64 v[23:24], 3, v[23:24]
	v_mov_b32_e32 v25, s9
	v_add_co_u32_e32 v23, vcc, s8, v23
	v_addc_co_u32_e32 v24, vcc, v25, v24, vcc
	s_waitcnt lgkmcnt(0)
	s_barrier
	global_load_dwordx4 v[29:32], v[23:24], off offset:136
	global_load_dwordx4 v[62:65], v[23:24], off offset:152
	;; [unrolled: 1-line block ×8, first 2 shown]
	ds_read_b32 v51, v52
	ds_read2_b32 v[25:26], v1 offset0:68 offset1:136
	ds_read2_b32 v[90:91], v40 offset0:76 offset1:144
	;; [unrolled: 1-line block ×8, first 2 shown]
	s_mov_b32 s10, 0x3f6eb680
	s_mov_b32 s6, 0x3f3d2fb0
	;; [unrolled: 1-line block ×8, first 2 shown]
	v_cmp_lt_u32_e32 vcc, 33, v0
	v_lshlrev_b32_e32 v58, 2, v58
	s_waitcnt vmcnt(0) lgkmcnt(0)
	s_barrier
	v_mul_f32_e32 v61, v25, v30
	v_mul_f32_e32 v43, v90, v63
	;; [unrolled: 1-line block ×8, first 2 shown]
	v_fmac_f32_e32 v59, v5, v86
	v_mul_f32_e32 v5, v5, v87
	v_fmac_f32_e32 v43, v17, v62
	v_fma_f32 v55, v90, v62, -v42
	v_fma_f32 v62, v102, v86, -v5
	v_mul_f32_e32 v5, v6, v89
	v_mul_f32_e32 v41, v100, v83
	v_fmac_f32_e32 v61, v19, v29
	v_fma_f32 v63, v25, v29, -v35
	v_fma_f32 v29, v93, v68, -v65
	;; [unrolled: 1-line block ×3, first 2 shown]
	v_mul_f32_e32 v56, v26, v32
	v_mul_f32_e32 v39, v20, v32
	;; [unrolled: 1-line block ×16, first 2 shown]
	v_fmac_f32_e32 v38, v18, v64
	v_fma_f32 v42, v91, v64, -v45
	v_fmac_f32_e32 v41, v7, v82
	v_mul_f32_e32 v64, v103, v89
	v_sub_f32_e32 v7, v63, v65
	v_mul_f32_e32 v69, v14, v73
	v_mul_f32_e32 v73, v12, v77
	;; [unrolled: 1-line block ×4, first 2 shown]
	v_fmac_f32_e32 v27, v16, v68
	v_fma_f32 v25, v94, v70, -v67
	v_fmac_f32_e32 v21, v14, v72
	v_fmac_f32_e32 v24, v12, v76
	;; [unrolled: 1-line block ×5, first 2 shown]
	v_mul_f32_e32 v8, 0xbeb8f4ab, v7
	v_mul_f32_e32 v10, 0xbf2c7751, v7
	;; [unrolled: 1-line block ×8, first 2 shown]
	v_fmac_f32_e32 v30, v15, v66
	v_fma_f32 v35, v92, v66, -v57
	v_fmac_f32_e32 v23, v13, v70
	v_fma_f32 v19, v95, v72, -v69
	v_fmac_f32_e32 v22, v11, v74
	v_fmac_f32_e32 v28, v9, v78
	v_add_f32_e32 v6, v61, v64
	v_mov_b32_e32 v9, v8
	v_mov_b32_e32 v11, v10
	;; [unrolled: 1-line block ×8, first 2 shown]
	v_fma_f32 v60, v26, v31, -v39
	v_fmac_f32_e32 v9, 0x3f6eb680, v6
	v_fma_f32 v8, v6, s10, -v8
	v_fmac_f32_e32 v11, 0x3f3d2fb0, v6
	;; [unrolled: 2-line block ×9, first 2 shown]
	v_add_f32_e32 v5, v34, v61
	v_add_f32_e32 v9, v34, v9
	;; [unrolled: 1-line block ×17, first 2 shown]
	v_sub_f32_e32 v34, v60, v62
	v_add_f32_e32 v7, v56, v59
	v_mul_f32_e32 v70, 0xbf2c7751, v34
	v_fma_f32 v20, v96, v74, -v71
	v_mov_b32_e32 v71, v70
	v_fma_f32 v70, v7, s6, -v70
	v_fmac_f32_e32 v71, 0x3f3d2fb0, v7
	v_add_f32_e32 v8, v70, v8
	v_mul_f32_e32 v70, 0xbf7ee86f, v34
	v_add_f32_e32 v9, v71, v9
	v_mov_b32_e32 v71, v70
	v_fma_f32 v70, v7, s4, -v70
	v_fmac_f32_e32 v71, 0x3dbcf732, v7
	v_add_f32_e32 v10, v70, v10
	v_mul_f32_e32 v70, 0xbf4c4adb, v34
	v_add_f32_e32 v11, v71, v11
	v_mov_b32_e32 v71, v70
	v_fma_f32 v70, v7, s11, -v70
	v_fmac_f32_e32 v71, 0xbf1a4643, v7
	v_add_f32_e32 v12, v70, v12
	v_mul_f32_e32 v70, 0xbe3c28d5, v34
	v_add_f32_e32 v13, v71, v13
	v_mov_b32_e32 v71, v70
	v_fma_f32 v70, v7, s15, -v70
	v_fmac_f32_e32 v71, 0xbf7ba420, v7
	v_add_f32_e32 v14, v70, v14
	v_mul_f32_e32 v70, 0x3f06c442, v34
	v_add_f32_e32 v15, v71, v15
	v_mov_b32_e32 v71, v70
	v_fma_f32 v70, v7, s14, -v70
	v_fmac_f32_e32 v71, 0xbf59a7d5, v7
	v_add_f32_e32 v16, v70, v16
	v_mul_f32_e32 v70, 0x3f763a35, v34
	v_add_f32_e32 v17, v71, v17
	v_mov_b32_e32 v71, v70
	v_fma_f32 v70, v7, s7, -v70
	v_fmac_f32_e32 v71, 0xbe8c1d8e, v7
	v_add_f32_e32 v18, v70, v18
	v_mul_f32_e32 v70, 0x3f65296c, v34
	v_add_f32_e32 v66, v71, v66
	v_mov_b32_e32 v71, v70
	v_fma_f32 v70, v7, s5, -v70
	v_mul_f32_e32 v34, 0x3eb8f4ab, v34
	v_fma_f32 v57, v101, v84, -v81
	v_add_f32_e32 v67, v70, v67
	v_mov_b32_e32 v70, v34
	v_fmac_f32_e32 v71, 0x3ee437d1, v7
	v_fmac_f32_e32 v70, 0x3f6eb680, v7
	v_fma_f32 v7, v7, s10, -v34
	v_sub_f32_e32 v34, v55, v57
	v_add_f32_e32 v69, v70, v69
	v_add_f32_e32 v6, v7, v6
	v_add_f32_e32 v7, v43, v50
	v_mul_f32_e32 v70, 0xbf65296c, v34
	v_add_f32_e32 v68, v71, v68
	v_mov_b32_e32 v71, v70
	v_fma_f32 v70, v7, s5, -v70
	v_fmac_f32_e32 v71, 0x3ee437d1, v7
	v_add_f32_e32 v8, v70, v8
	v_mul_f32_e32 v70, 0xbf4c4adb, v34
	v_add_f32_e32 v9, v71, v9
	v_mov_b32_e32 v71, v70
	v_fma_f32 v70, v7, s11, -v70
	v_fmac_f32_e32 v71, 0xbf1a4643, v7
	v_add_f32_e32 v10, v70, v10
	v_mul_f32_e32 v70, 0x3e3c28d5, v34
	v_add_f32_e32 v11, v71, v11
	v_mov_b32_e32 v71, v70
	v_fma_f32 v70, v7, s15, -v70
	v_fmac_f32_e32 v71, 0xbf7ba420, v7
	v_add_f32_e32 v12, v70, v12
	v_mul_f32_e32 v70, 0x3f763a35, v34
	v_add_f32_e32 v13, v71, v13
	v_mov_b32_e32 v71, v70
	v_fma_f32 v70, v7, s7, -v70
	v_fmac_f32_e32 v71, 0xbe8c1d8e, v7
	v_add_f32_e32 v14, v70, v14
	v_mul_f32_e32 v70, 0x3f2c7751, v34
	v_add_f32_e32 v15, v71, v15
	v_mov_b32_e32 v71, v70
	v_fma_f32 v70, v7, s6, -v70
	v_fmac_f32_e32 v71, 0x3f3d2fb0, v7
	v_add_f32_e32 v16, v70, v16
	v_mul_f32_e32 v70, 0xbeb8f4ab, v34
	v_add_f32_e32 v17, v71, v17
	v_mov_b32_e32 v71, v70
	v_fma_f32 v70, v7, s10, -v70
	v_fmac_f32_e32 v71, 0x3f6eb680, v7
	v_add_f32_e32 v18, v70, v18
	v_mul_f32_e32 v70, 0xbf7ee86f, v34
	v_add_f32_e32 v66, v71, v66
	v_mov_b32_e32 v71, v70
	v_fma_f32 v70, v7, s4, -v70
	v_mul_f32_e32 v34, 0xbf06c442, v34
	v_fma_f32 v45, v100, v82, -v79
	v_add_f32_e32 v67, v70, v67
	v_mov_b32_e32 v70, v34
	v_fmac_f32_e32 v71, 0x3dbcf732, v7
	v_fmac_f32_e32 v70, 0xbf59a7d5, v7
	v_fma_f32 v7, v7, s14, -v34
	v_sub_f32_e32 v34, v42, v45
	v_add_f32_e32 v69, v70, v69
	v_add_f32_e32 v6, v7, v6
	v_add_f32_e32 v7, v38, v41
	v_mul_f32_e32 v70, 0xbf7ee86f, v34
	v_add_f32_e32 v68, v71, v68
	;; [unrolled: 51-line block ×5, first 2 shown]
	v_mov_b32_e32 v71, v70
	v_fma_f32 v70, v7, s14, -v70
	v_fmac_f32_e32 v71, 0xbf59a7d5, v7
	v_add_f32_e32 v8, v70, v8
	v_mul_f32_e32 v70, 0x3f65296c, v34
	v_add_f32_e32 v9, v71, v9
	v_mov_b32_e32 v71, v70
	v_fma_f32 v70, v7, s5, -v70
	v_fmac_f32_e32 v71, 0x3ee437d1, v7
	v_add_f32_e32 v10, v70, v10
	v_mul_f32_e32 v70, 0xbf7ee86f, v34
	v_add_f32_e32 v11, v71, v11
	;; [unrolled: 6-line block ×6, first 2 shown]
	v_mov_b32_e32 v71, v70
	v_fma_f32 v70, v7, s6, -v70
	v_mul_f32_e32 v34, 0xbf763a35, v34
	v_add_f32_e32 v67, v70, v67
	v_mov_b32_e32 v70, v34
	v_fmac_f32_e32 v70, 0xbe8c1d8e, v7
	v_fmac_f32_e32 v71, 0x3f3d2fb0, v7
	v_add_f32_e32 v69, v70, v69
	v_fma_f32 v7, v7, s7, -v34
	v_sub_f32_e32 v70, v19, v20
	v_add_f32_e32 v6, v7, v6
	v_add_f32_e32 v7, v21, v22
	v_mul_f32_e32 v34, 0xbe3c28d5, v70
	v_add_f32_e32 v68, v71, v68
	v_mov_b32_e32 v71, v34
	v_fma_f32 v34, v7, s15, -v34
	v_fmac_f32_e32 v71, 0xbf7ba420, v7
	v_add_f32_e32 v34, v34, v8
	v_mul_f32_e32 v8, 0x3eb8f4ab, v70
	v_add_f32_e32 v9, v71, v9
	v_mov_b32_e32 v71, v8
	v_fma_f32 v8, v7, s10, -v8
	v_fmac_f32_e32 v71, 0x3f6eb680, v7
	v_add_f32_e32 v8, v8, v10
	v_mul_f32_e32 v10, 0xbf06c442, v70
	v_add_f32_e32 v11, v71, v11
	v_mov_b32_e32 v71, v10
	v_fma_f32 v10, v7, s14, -v10
	v_add_f32_e32 v5, v5, v56
	v_fmac_f32_e32 v71, 0xbf59a7d5, v7
	v_add_f32_e32 v10, v10, v12
	v_mul_f32_e32 v12, 0x3f2c7751, v70
	v_add_f32_e32 v5, v5, v43
	v_add_f32_e32 v13, v71, v13
	v_mov_b32_e32 v71, v12
	v_fma_f32 v12, v7, s6, -v12
	v_add_f32_e32 v5, v5, v38
	v_fmac_f32_e32 v71, 0x3f3d2fb0, v7
	v_add_f32_e32 v12, v12, v14
	v_mul_f32_e32 v14, 0xbf4c4adb, v70
	v_add_f32_e32 v5, v5, v30
	v_add_f32_e32 v15, v71, v15
	v_mov_b32_e32 v71, v14
	v_fma_f32 v14, v7, s11, -v14
	v_add_f32_e32 v5, v5, v27
	v_fmac_f32_e32 v71, 0xbf1a4643, v7
	v_add_f32_e32 v14, v14, v16
	v_mul_f32_e32 v16, 0x3f65296c, v70
	v_add_f32_e32 v5, v5, v23
	v_add_f32_e32 v17, v71, v17
	v_mov_b32_e32 v71, v16
	v_fma_f32 v16, v7, s5, -v16
	v_add_f32_e32 v5, v5, v21
	v_fmac_f32_e32 v71, 0x3ee437d1, v7
	v_add_f32_e32 v16, v16, v18
	v_mul_f32_e32 v18, 0xbf763a35, v70
	v_add_f32_e32 v5, v5, v22
	v_add_f32_e32 v66, v71, v66
	v_mov_b32_e32 v71, v18
	v_fma_f32 v18, v7, s7, -v18
	v_add_f32_e32 v5, v5, v24
	v_add_f32_e32 v18, v18, v67
	v_mul_f32_e32 v67, 0x3f7ee86f, v70
	v_add_f32_e32 v5, v5, v28
	v_mov_b32_e32 v70, v67
	v_add_f32_e32 v5, v5, v32
	v_fmac_f32_e32 v71, 0xbe8c1d8e, v7
	v_fmac_f32_e32 v70, 0x3dbcf732, v7
	v_fma_f32 v7, v7, s4, -v67
	v_add_f32_e32 v5, v5, v41
	v_add_f32_e32 v6, v7, v6
	v_mov_b32_e32 v7, 0x908
	v_add_f32_e32 v5, v5, v50
	v_cndmask_b32_e32 v7, 0, v7, vcc
	v_add_f32_e32 v5, v5, v59
	v_add_u32_e32 v7, 0, v7
	v_add_f32_e32 v5, v5, v64
	v_add3_u32 v53, v7, v58, v53
	v_add_f32_e32 v68, v71, v68
	v_add_f32_e32 v69, v70, v69
	ds_write2_b32 v53, v5, v9 offset1:34
	ds_write2_b32 v53, v11, v13 offset0:68 offset1:102
	ds_write2_b32 v53, v15, v17 offset0:136 offset1:170
	;; [unrolled: 1-line block ×3, first 2 shown]
	v_add_u32_e32 v5, 0x400, v53
	ds_write2_b32 v5, v69, v6 offset0:16 offset1:50
	ds_write2_b32 v5, v18, v16 offset0:84 offset1:118
	;; [unrolled: 1-line block ×4, first 2 shown]
	ds_write_b32 v53, v34 offset:2176
	s_waitcnt lgkmcnt(0)
	s_barrier
	ds_read2_b32 v[11:12], v47 offset0:92 offset1:194
	ds_read2_b32 v[5:6], v1 offset0:68 offset1:136
	;; [unrolled: 1-line block ×7, first 2 shown]
	ds_read_b32 v40, v52
	ds_read_b32 v46, v1 offset:4216
	s_and_saveexec_b64 s[4:5], s[2:3]
	s_cbranch_execz .LBB0_20
; %bb.19:
	ds_read_b32 v34, v1 offset:2176
	ds_read_b32 v44, v1 offset:4488
.LBB0_20:
	s_or_b64 exec, exec, s[4:5]
	v_add_f32_e32 v47, v51, v63
	v_add_f32_e32 v47, v47, v60
	v_add_f32_e32 v47, v47, v55
	v_add_f32_e32 v47, v47, v42
	v_add_f32_e32 v47, v47, v35
	v_add_f32_e32 v47, v47, v29
	v_add_f32_e32 v47, v47, v25
	v_add_f32_e32 v47, v47, v19
	v_add_f32_e32 v47, v47, v20
	v_add_f32_e32 v47, v47, v26
	v_add_f32_e32 v47, v47, v31
	v_add_f32_e32 v47, v47, v39
	v_add_f32_e32 v47, v47, v45
	v_add_f32_e32 v47, v47, v57
	v_add_f32_e32 v47, v47, v62
	v_add_f32_e32 v48, v63, v65
	v_add_f32_e32 v47, v47, v65
	v_mul_f32_e32 v58, 0x3f6eb680, v48
	v_mul_f32_e32 v63, 0x3f3d2fb0, v48
	;; [unrolled: 1-line block ×8, first 2 shown]
	v_sub_f32_e32 v49, v61, v64
	v_mov_b32_e32 v61, v58
	v_mov_b32_e32 v64, v63
	;; [unrolled: 1-line block ×8, first 2 shown]
	v_fmac_f32_e32 v61, 0x3eb8f4ab, v49
	v_fmac_f32_e32 v58, 0xbeb8f4ab, v49
	;; [unrolled: 1-line block ×16, first 2 shown]
	v_add_f32_e32 v49, v60, v62
	v_add_f32_e32 v61, v51, v61
	;; [unrolled: 1-line block ×17, first 2 shown]
	v_sub_f32_e32 v51, v56, v59
	v_mul_f32_e32 v56, 0x3f3d2fb0, v49
	v_mov_b32_e32 v59, v56
	v_fmac_f32_e32 v56, 0xbf2c7751, v51
	v_fmac_f32_e32 v59, 0x3f2c7751, v51
	v_add_f32_e32 v56, v56, v58
	v_mul_f32_e32 v58, 0x3dbcf732, v49
	v_add_f32_e32 v59, v59, v61
	v_mov_b32_e32 v60, v58
	v_fmac_f32_e32 v58, 0xbf7ee86f, v51
	v_mul_f32_e32 v61, 0xbf1a4643, v49
	v_fmac_f32_e32 v60, 0x3f7ee86f, v51
	v_add_f32_e32 v58, v58, v63
	v_mov_b32_e32 v62, v61
	v_fmac_f32_e32 v61, 0xbf4c4adb, v51
	v_mul_f32_e32 v63, 0xbf7ba420, v49
	v_add_f32_e32 v60, v60, v64
	v_fmac_f32_e32 v62, 0x3f4c4adb, v51
	v_add_f32_e32 v61, v61, v65
	v_mov_b32_e32 v64, v63
	v_fmac_f32_e32 v63, 0xbe3c28d5, v51
	v_mul_f32_e32 v65, 0xbf59a7d5, v49
	v_add_f32_e32 v62, v62, v66
	v_fmac_f32_e32 v64, 0x3e3c28d5, v51
	v_add_f32_e32 v63, v63, v67
	v_mov_b32_e32 v66, v65
	v_fmac_f32_e32 v65, 0x3f06c442, v51
	v_mul_f32_e32 v67, 0xbe8c1d8e, v49
	v_add_f32_e32 v64, v64, v68
	v_add_f32_e32 v65, v65, v69
	v_mov_b32_e32 v68, v67
	v_fmac_f32_e32 v67, 0x3f763a35, v51
	v_mul_f32_e32 v69, 0x3ee437d1, v49
	v_mul_f32_e32 v49, 0x3f6eb680, v49
	v_add_f32_e32 v67, v67, v71
	v_mov_b32_e32 v71, v49
	v_fmac_f32_e32 v49, 0x3eb8f4ab, v51
	v_fmac_f32_e32 v66, 0xbf06c442, v51
	v_add_f32_e32 v48, v49, v48
	v_add_f32_e32 v49, v55, v57
	;; [unrolled: 1-line block ×3, first 2 shown]
	v_mov_b32_e32 v70, v69
	v_sub_f32_e32 v43, v43, v50
	v_mul_f32_e32 v50, 0x3ee437d1, v49
	v_fmac_f32_e32 v68, 0xbf763a35, v51
	v_fmac_f32_e32 v70, 0xbf65296c, v51
	;; [unrolled: 1-line block ×4, first 2 shown]
	v_mov_b32_e32 v51, v50
	v_fmac_f32_e32 v50, 0xbf65296c, v43
	v_mul_f32_e32 v55, 0xbf1a4643, v49
	v_fmac_f32_e32 v51, 0x3f65296c, v43
	v_add_f32_e32 v50, v50, v56
	v_mov_b32_e32 v56, v55
	v_fmac_f32_e32 v55, 0xbf4c4adb, v43
	v_mul_f32_e32 v57, 0xbf7ba420, v49
	v_add_f32_e32 v51, v51, v59
	v_fmac_f32_e32 v56, 0x3f4c4adb, v43
	v_add_f32_e32 v55, v55, v58
	v_mov_b32_e32 v58, v57
	v_fmac_f32_e32 v57, 0x3e3c28d5, v43
	v_mul_f32_e32 v59, 0xbe8c1d8e, v49
	v_add_f32_e32 v56, v56, v60
	v_fmac_f32_e32 v58, 0xbe3c28d5, v43
	v_add_f32_e32 v57, v57, v61
	v_mov_b32_e32 v60, v59
	v_fmac_f32_e32 v59, 0x3f763a35, v43
	v_mul_f32_e32 v61, 0x3f3d2fb0, v49
	v_add_f32_e32 v58, v58, v62
	v_fmac_f32_e32 v60, 0xbf763a35, v43
	v_add_f32_e32 v59, v59, v63
	v_mov_b32_e32 v62, v61
	v_fmac_f32_e32 v61, 0x3f2c7751, v43
	v_mul_f32_e32 v63, 0x3f6eb680, v49
	v_add_f32_e32 v60, v60, v64
	v_fmac_f32_e32 v62, 0xbf2c7751, v43
	v_add_f32_e32 v61, v61, v65
	v_mov_b32_e32 v64, v63
	v_fmac_f32_e32 v63, 0xbeb8f4ab, v43
	v_mul_f32_e32 v65, 0x3dbcf732, v49
	v_mul_f32_e32 v49, 0xbf59a7d5, v49
	v_add_f32_e32 v42, v42, v45
	v_add_f32_e32 v62, v62, v66
	;; [unrolled: 1-line block ×3, first 2 shown]
	v_mov_b32_e32 v66, v65
	v_mov_b32_e32 v67, v49
	v_fmac_f32_e32 v49, 0xbf06c442, v43
	v_sub_f32_e32 v38, v38, v41
	v_mul_f32_e32 v41, 0x3dbcf732, v42
	v_fmac_f32_e32 v64, 0x3eb8f4ab, v43
	v_fmac_f32_e32 v66, 0x3f7ee86f, v43
	;; [unrolled: 1-line block ×4, first 2 shown]
	v_add_f32_e32 v43, v49, v48
	v_mov_b32_e32 v45, v41
	v_fmac_f32_e32 v41, 0xbf7ee86f, v38
	v_mul_f32_e32 v48, 0xbf7ba420, v42
	v_fmac_f32_e32 v45, 0x3f7ee86f, v38
	v_add_f32_e32 v41, v41, v50
	v_mov_b32_e32 v49, v48
	v_fmac_f32_e32 v48, 0xbe3c28d5, v38
	v_mul_f32_e32 v50, 0xbe8c1d8e, v42
	v_add_f32_e32 v45, v45, v51
	v_fmac_f32_e32 v49, 0x3e3c28d5, v38
	v_add_f32_e32 v48, v48, v55
	v_mov_b32_e32 v51, v50
	v_fmac_f32_e32 v50, 0x3f763a35, v38
	v_mul_f32_e32 v55, 0x3f6eb680, v42
	v_add_f32_e32 v49, v49, v56
	;; [unrolled: 6-line block ×3, first 2 shown]
	v_add_f32_e32 v51, v51, v58
	v_fmac_f32_e32 v56, 0xbeb8f4ab, v38
	v_add_f32_e32 v55, v55, v59
	v_mov_b32_e32 v58, v57
	v_fmac_f32_e32 v57, 0xbf65296c, v38
	v_mul_f32_e32 v59, 0xbf59a7d5, v42
	v_sub_f32_e32 v30, v30, v32
	v_mul_f32_e32 v32, 0xbe8c1d8e, v35
	v_add_f32_e32 v56, v56, v60
	v_fmac_f32_e32 v58, 0x3f65296c, v38
	v_add_f32_e32 v57, v57, v61
	v_mov_b32_e32 v60, v59
	v_fmac_f32_e32 v59, 0xbf06c442, v38
	v_mul_f32_e32 v61, 0xbf1a4643, v42
	v_mul_f32_e32 v42, 0x3f3d2fb0, v42
	v_mov_b32_e32 v39, v32
	v_fmac_f32_e32 v32, 0xbf763a35, v30
	v_add_f32_e32 v58, v58, v62
	v_add_f32_e32 v59, v59, v63
	v_mov_b32_e32 v62, v61
	v_mov_b32_e32 v63, v42
	v_fmac_f32_e32 v42, 0x3f2c7751, v38
	v_add_f32_e32 v32, v32, v41
	v_mul_f32_e32 v41, 0xbf59a7d5, v35
	v_fmac_f32_e32 v60, 0x3f06c442, v38
	v_fmac_f32_e32 v62, 0xbf4c4adb, v38
	;; [unrolled: 1-line block ×4, first 2 shown]
	v_add_f32_e32 v38, v42, v43
	v_fmac_f32_e32 v39, 0x3f763a35, v30
	v_mov_b32_e32 v42, v41
	v_fmac_f32_e32 v41, 0x3f06c442, v30
	v_mul_f32_e32 v43, 0x3f3d2fb0, v35
	v_add_f32_e32 v39, v39, v45
	v_fmac_f32_e32 v42, 0xbf06c442, v30
	v_add_f32_e32 v41, v41, v48
	v_mov_b32_e32 v45, v43
	v_fmac_f32_e32 v43, 0x3f2c7751, v30
	v_mul_f32_e32 v48, 0x3ee437d1, v35
	v_add_f32_e32 v42, v42, v49
	v_fmac_f32_e32 v45, 0xbf2c7751, v30
	v_add_f32_e32 v43, v43, v50
	v_mov_b32_e32 v49, v48
	v_fmac_f32_e32 v48, 0xbf65296c, v30
	v_mul_f32_e32 v50, 0xbf7ba420, v35
	v_add_f32_e32 v29, v29, v31
	v_add_f32_e32 v45, v45, v51
	v_fmac_f32_e32 v49, 0x3f65296c, v30
	v_add_f32_e32 v48, v48, v55
	v_mov_b32_e32 v51, v50
	v_fmac_f32_e32 v50, 0xbe3c28d5, v30
	v_mul_f32_e32 v55, 0x3dbcf732, v35
	v_sub_f32_e32 v27, v27, v28
	v_mul_f32_e32 v28, 0xbf1a4643, v29
	v_add_f32_e32 v49, v49, v56
	v_fmac_f32_e32 v51, 0x3e3c28d5, v30
	v_add_f32_e32 v50, v50, v57
	v_mov_b32_e32 v56, v55
	v_fmac_f32_e32 v55, 0x3f7ee86f, v30
	v_mul_f32_e32 v57, 0x3f6eb680, v35
	v_mul_f32_e32 v35, 0xbf1a4643, v35
	v_mov_b32_e32 v31, v28
	v_fmac_f32_e32 v28, 0xbf4c4adb, v27
	v_add_f32_e32 v51, v51, v58
	v_add_f32_e32 v55, v55, v59
	v_mov_b32_e32 v58, v57
	v_mov_b32_e32 v59, v35
	v_fmac_f32_e32 v35, 0xbf4c4adb, v30
	v_add_f32_e32 v28, v28, v32
	v_mul_f32_e32 v32, 0xbe8c1d8e, v29
	v_fmac_f32_e32 v56, 0xbf7ee86f, v30
	v_fmac_f32_e32 v58, 0x3eb8f4ab, v30
	;; [unrolled: 1-line block ×4, first 2 shown]
	v_add_f32_e32 v30, v35, v38
	v_fmac_f32_e32 v31, 0x3f4c4adb, v27
	v_mov_b32_e32 v35, v32
	v_fmac_f32_e32 v32, 0x3f763a35, v27
	v_mul_f32_e32 v38, 0x3f6eb680, v29
	v_add_f32_e32 v31, v31, v39
	v_fmac_f32_e32 v35, 0xbf763a35, v27
	v_add_f32_e32 v32, v32, v41
	v_mov_b32_e32 v39, v38
	v_fmac_f32_e32 v38, 0xbeb8f4ab, v27
	v_mul_f32_e32 v41, 0xbf59a7d5, v29
	v_add_f32_e32 v35, v35, v42
	v_fmac_f32_e32 v39, 0x3eb8f4ab, v27
	v_add_f32_e32 v38, v38, v43
	v_mov_b32_e32 v42, v41
	v_fmac_f32_e32 v41, 0xbf06c442, v27
	v_mul_f32_e32 v43, 0x3dbcf732, v29
	v_add_f32_e32 v25, v25, v26
	v_add_f32_e32 v39, v39, v45
	v_fmac_f32_e32 v42, 0x3f06c442, v27
	v_add_f32_e32 v41, v41, v48
	v_mov_b32_e32 v45, v43
	v_fmac_f32_e32 v43, 0x3f7ee86f, v27
	v_mul_f32_e32 v48, 0x3f3d2fb0, v29
	v_sub_f32_e32 v23, v23, v24
	v_mul_f32_e32 v24, 0xbf59a7d5, v25
	v_add_f32_e32 v42, v42, v49
	v_fmac_f32_e32 v45, 0xbf7ee86f, v27
	v_add_f32_e32 v43, v43, v50
	v_mov_b32_e32 v49, v48
	v_fmac_f32_e32 v48, 0xbf2c7751, v27
	v_mul_f32_e32 v50, 0xbf7ba420, v29
	v_mul_f32_e32 v29, 0x3ee437d1, v29
	v_mov_b32_e32 v26, v24
	v_fmac_f32_e32 v24, 0xbf06c442, v23
	v_add_f32_e32 v45, v45, v51
	v_add_f32_e32 v48, v48, v55
	v_mov_b32_e32 v51, v50
	v_mov_b32_e32 v55, v29
	v_fmac_f32_e32 v29, 0x3f65296c, v27
	v_add_f32_e32 v24, v24, v28
	v_mul_f32_e32 v28, 0x3ee437d1, v25
	v_fmac_f32_e32 v49, 0x3f2c7751, v27
	v_fmac_f32_e32 v51, 0x3e3c28d5, v27
	;; [unrolled: 1-line block ×4, first 2 shown]
	v_add_f32_e32 v27, v29, v30
	v_mov_b32_e32 v29, v28
	v_fmac_f32_e32 v28, 0x3f65296c, v23
	v_fmac_f32_e32 v29, 0xbf65296c, v23
	v_add_f32_e32 v28, v28, v32
	v_mul_f32_e32 v32, 0xbf1a4643, v25
	v_fmac_f32_e32 v26, 0x3f06c442, v23
	v_add_f32_e32 v29, v29, v35
	v_mul_f32_e32 v30, 0x3dbcf732, v25
	v_mov_b32_e32 v35, v32
	v_add_f32_e32 v26, v26, v31
	v_mov_b32_e32 v31, v30
	v_fmac_f32_e32 v30, 0xbf7ee86f, v23
	v_fmac_f32_e32 v35, 0xbf4c4adb, v23
	;; [unrolled: 1-line block ×3, first 2 shown]
	v_add_f32_e32 v30, v30, v38
	v_add_f32_e32 v38, v35, v42
	v_mul_f32_e32 v35, 0x3f6eb680, v25
	v_add_f32_e32 v69, v69, v73
	v_add_f32_e32 v31, v31, v39
	v_fmac_f32_e32 v32, 0x3f4c4adb, v23
	v_mov_b32_e32 v39, v35
	v_fmac_f32_e32 v35, 0xbeb8f4ab, v23
	v_add_f32_e32 v65, v65, v69
	v_add_f32_e32 v32, v32, v41
	;; [unrolled: 1-line block ×3, first 2 shown]
	v_mul_f32_e32 v35, 0xbf7ba420, v25
	v_add_f32_e32 v68, v68, v72
	v_add_f32_e32 v71, v71, v75
	;; [unrolled: 1-line block ×3, first 2 shown]
	v_mov_b32_e32 v42, v35
	v_fmac_f32_e32 v35, 0xbe3c28d5, v23
	v_add_f32_e32 v64, v64, v68
	v_add_f32_e32 v67, v67, v71
	;; [unrolled: 1-line block ×3, first 2 shown]
	v_fmac_f32_e32 v39, 0x3eb8f4ab, v23
	v_add_f32_e32 v43, v35, v48
	v_mul_f32_e32 v35, 0x3f3d2fb0, v25
	v_add_f32_e32 v60, v60, v64
	v_add_f32_e32 v63, v63, v67
	;; [unrolled: 1-line block ×4, first 2 shown]
	v_mov_b32_e32 v45, v35
	v_fmac_f32_e32 v35, 0x3f2c7751, v23
	v_mul_f32_e32 v25, 0xbe8c1d8e, v25
	v_add_f32_e32 v19, v19, v20
	v_add_f32_e32 v56, v56, v60
	;; [unrolled: 1-line block ×4, first 2 shown]
	v_mov_b32_e32 v35, v25
	v_sub_f32_e32 v20, v21, v22
	v_mul_f32_e32 v21, 0xbf7ba420, v19
	v_add_f32_e32 v49, v49, v56
	v_add_f32_e32 v55, v55, v59
	v_fmac_f32_e32 v42, 0x3e3c28d5, v23
	v_fmac_f32_e32 v35, 0x3f763a35, v23
	v_mov_b32_e32 v22, v21
	v_fmac_f32_e32 v21, 0xbe3c28d5, v20
	v_add_f32_e32 v42, v42, v49
	v_add_f32_e32 v49, v35, v55
	v_fmac_f32_e32 v25, 0xbf763a35, v23
	v_add_f32_e32 v35, v21, v24
	v_mul_f32_e32 v21, 0x3f6eb680, v19
	v_fmac_f32_e32 v45, 0xbf2c7751, v23
	v_add_f32_e32 v23, v25, v27
	v_fmac_f32_e32 v22, 0x3e3c28d5, v20
	v_mov_b32_e32 v24, v21
	v_fmac_f32_e32 v21, 0x3eb8f4ab, v20
	v_mul_f32_e32 v25, 0xbf59a7d5, v19
	v_mul_f32_e32 v27, 0x3f3d2fb0, v19
	v_add_f32_e32 v70, v70, v74
	v_add_f32_e32 v22, v22, v26
	v_fmac_f32_e32 v24, 0xbeb8f4ab, v20
	v_add_f32_e32 v21, v21, v28
	v_mov_b32_e32 v26, v25
	v_mov_b32_e32 v28, v27
	v_add_f32_e32 v66, v66, v70
	v_add_f32_e32 v24, v24, v29
	v_fmac_f32_e32 v26, 0x3f06c442, v20
	v_fmac_f32_e32 v25, 0xbf06c442, v20
	;; [unrolled: 1-line block ×3, first 2 shown]
	v_mul_f32_e32 v29, 0xbf1a4643, v19
	v_add_f32_e32 v62, v62, v66
	v_add_f32_e32 v26, v26, v31
	;; [unrolled: 1-line block ×4, first 2 shown]
	v_mov_b32_e32 v30, v29
	v_fmac_f32_e32 v29, 0xbf4c4adb, v20
	v_mul_f32_e32 v31, 0x3ee437d1, v19
	v_mul_f32_e32 v38, 0xbe8c1d8e, v19
	;; [unrolled: 1-line block ×3, first 2 shown]
	v_add_f32_e32 v58, v58, v62
	v_fmac_f32_e32 v27, 0x3f2c7751, v20
	v_fmac_f32_e32 v30, 0x3f4c4adb, v20
	v_add_f32_e32 v29, v29, v41
	v_mov_b32_e32 v41, v19
	v_add_f32_e32 v51, v51, v58
	v_add_f32_e32 v27, v27, v32
	;; [unrolled: 1-line block ×3, first 2 shown]
	v_mov_b32_e32 v32, v31
	v_mov_b32_e32 v39, v38
	v_fmac_f32_e32 v41, 0xbf7ee86f, v20
	v_fmac_f32_e32 v19, 0x3f7ee86f, v20
	v_add_f32_e32 v45, v45, v51
	v_fmac_f32_e32 v32, 0xbf65296c, v20
	v_fmac_f32_e32 v31, 0x3f65296c, v20
	;; [unrolled: 1-line block ×4, first 2 shown]
	v_add_f32_e32 v41, v41, v49
	v_add_f32_e32 v19, v19, v23
	v_add_u32_e32 v20, 0x400, v53
	v_add_f32_e32 v32, v32, v42
	v_add_f32_e32 v31, v31, v43
	;; [unrolled: 1-line block ×4, first 2 shown]
	s_waitcnt lgkmcnt(0)
	s_barrier
	ds_write2_b32 v53, v47, v22 offset1:34
	ds_write2_b32 v53, v24, v26 offset0:68 offset1:102
	ds_write2_b32 v53, v28, v30 offset0:136 offset1:170
	;; [unrolled: 1-line block ×7, first 2 shown]
	ds_write_b32 v53, v35 offset:2176
	v_add_u32_e32 v19, 0x600, v1
	v_add_u32_e32 v21, 0x800, v1
	s_waitcnt lgkmcnt(0)
	s_barrier
	ds_read2_b32 v[25:26], v19 offset0:92 offset1:194
	ds_read2_b32 v[19:20], v1 offset0:68 offset1:136
	ds_read2_b32 v[27:28], v21 offset0:134 offset1:202
	v_add_u32_e32 v21, 0x200, v1
	v_add_u32_e32 v31, 0xc00, v1
	;; [unrolled: 1-line block ×3, first 2 shown]
	ds_read2_b32 v[21:22], v21 offset0:76 offset1:144
	ds_read2_b32 v[29:30], v31 offset0:14 offset1:82
	;; [unrolled: 1-line block ×4, first 2 shown]
	ds_read_b32 v38, v52
	ds_read_b32 v39, v1 offset:4216
	s_and_saveexec_b64 s[4:5], s[2:3]
	s_cbranch_execz .LBB0_22
; %bb.21:
	ds_read_b32 v35, v1 offset:2176
	ds_read_b32 v33, v1 offset:4488
	v_mov_b32_e32 v4, v54
.LBB0_22:
	s_or_b64 exec, exec, s[4:5]
	s_and_saveexec_b64 s[4:5], s[0:1]
	s_cbranch_execz .LBB0_25
; %bb.23:
	v_mov_b32_e32 v1, 0
	v_lshlrev_b64 v[41:42], 3, v[0:1]
	v_mov_b32_e32 v0, s9
	v_add_co_u32_e32 v43, vcc, s8, v41
	v_addc_co_u32_e32 v0, vcc, v0, v42, vcc
	v_add_co_u32_e32 v47, vcc, 0x2000, v43
	v_addc_co_u32_e32 v48, vcc, 0, v0, vcc
	v_add_co_u32_e32 v49, vcc, 0x1000, v43
	global_load_dwordx2 v[47:48], v[47:48], off offset:104
	v_addc_co_u32_e32 v50, vcc, 0, v0, vcc
	global_load_dwordx2 v[51:52], v[49:50], off offset:3656
	global_load_dwordx2 v[53:54], v[49:50], off offset:3112
	global_load_dwordx2 v[55:56], v[49:50], off offset:2568
	global_load_dwordx2 v[57:58], v[49:50], off offset:2024
	global_load_dwordx2 v[59:60], v[49:50], off offset:1480
	global_load_dwordx2 v[61:62], v[49:50], off offset:936
	global_load_dwordx2 v[63:64], v[49:50], off offset:392
	v_mov_b32_e32 v0, s13
	v_add_co_u32_e32 v2, vcc, s12, v2
	v_addc_co_u32_e32 v0, vcc, v0, v3, vcc
	v_add_co_u32_e32 v2, vcc, v2, v41
	s_mov_b32 s1, 0xe2c4a689
	v_addc_co_u32_e32 v3, vcc, v0, v42, vcc
	v_mul_hi_u32 v0, v36, s1
	s_movk_i32 s0, 0x1000
	v_lshrrev_b32_e32 v0, 9, v0
	v_mul_u32_u24_e32 v0, 0x242, v0
	s_waitcnt vmcnt(5) lgkmcnt(2)
	v_mul_f32_e32 v49, v31, v54
	s_waitcnt vmcnt(4)
	v_mul_f32_e32 v50, v16, v56
	v_mul_f32_e32 v43, v46, v48
	s_waitcnt lgkmcnt(0)
	v_mul_f32_e32 v45, v39, v48
	v_fma_f32 v39, v39, v47, -v43
	v_fmac_f32_e32 v45, v46, v47
	v_mul_f32_e32 v43, v18, v52
	v_mul_f32_e32 v47, v32, v52
	;; [unrolled: 1-line block ×3, first 2 shown]
	s_waitcnt vmcnt(0)
	v_mul_f32_e32 v66, v12, v64
	v_mul_f32_e32 v64, v26, v64
	;; [unrolled: 1-line block ×7, first 2 shown]
	v_fma_f32 v32, v32, v51, -v43
	v_fmac_f32_e32 v47, v18, v51
	v_fma_f32 v18, v31, v53, -v48
	v_fma_f32 v31, v26, v63, -v66
	v_fmac_f32_e32 v64, v12, v63
	v_mul_f32_e32 v65, v13, v62
	v_mul_f32_e32 v62, v27, v62
	v_fmac_f32_e32 v60, v14, v59
	v_sub_f32_e32 v14, v24, v32
	v_sub_f32_e32 v32, v38, v31
	;; [unrolled: 1-line block ×4, first 2 shown]
	v_fmac_f32_e32 v49, v17, v53
	v_fma_f32 v17, v30, v55, -v50
	v_fmac_f32_e32 v52, v16, v55
	v_fma_f32 v29, v29, v57, -v54
	v_fma_f32 v28, v28, v59, -v58
	;; [unrolled: 1-line block ×3, first 2 shown]
	v_fmac_f32_e32 v62, v13, v61
	v_fma_f32 v39, v38, 2.0, -v32
	v_fma_f32 v38, v40, 2.0, -v31
	v_fmac_f32_e32 v56, v15, v57
	v_sub_f32_e32 v13, v10, v47
	v_sub_f32_e32 v16, v23, v18
	;; [unrolled: 1-line block ×9, first 2 shown]
	global_store_dwordx2 v[2:3], v[38:39], off
	v_add_co_u32_e32 v38, vcc, s0, v2
	v_fma_f32 v12, v25, 2.0, -v46
	v_sub_f32_e32 v25, v7, v56
	v_fma_f32 v47, v10, 2.0, -v13
	v_fma_f32 v10, v23, 2.0, -v16
	;; [unrolled: 1-line block ×9, first 2 shown]
	v_addc_co_u32_e32 v39, vcc, 0, v3, vcc
	v_fma_f32 v7, v7, 2.0, -v25
	global_store_dwordx2 v[38:39], v[31:32], off offset:528
	global_store_dwordx2 v[2:3], v[5:6], off offset:544
	;; [unrolled: 1-line block ×8, first 2 shown]
	v_lshlrev_b64 v[5:6], 3, v[0:1]
	v_mul_hi_u32 v0, v37, s1
	v_add_co_u32_e32 v5, vcc, v2, v5
	v_sub_f32_e32 v15, v9, v49
	v_fma_f32 v48, v24, 2.0, -v14
	v_addc_co_u32_e32 v6, vcc, v3, v6, vcc
	v_fma_f32 v9, v9, 2.0, -v15
	global_store_dwordx2 v[38:39], v[17:18], off offset:2704
	global_store_dwordx2 v[2:3], v[9:10], off offset:2720
	;; [unrolled: 1-line block ×4, first 2 shown]
	v_add_co_u32_e32 v5, vcc, s0, v5
	v_lshrrev_b32_e32 v0, 9, v0
	v_addc_co_u32_e32 v6, vcc, 0, v6, vcc
	v_mul_u32_u24_e32 v0, 0x242, v0
	global_store_dwordx2 v[5:6], v[13:14], off offset:3792
	v_lshlrev_b64 v[5:6], 3, v[0:1]
	v_sub_f32_e32 v45, v11, v45
	v_add_co_u32_e32 v5, vcc, v2, v5
	v_fma_f32 v11, v11, 2.0, -v45
	v_addc_co_u32_e32 v6, vcc, v3, v6, vcc
	global_store_dwordx2 v[5:6], v[11:12], off offset:3808
	v_add_co_u32_e32 v5, vcc, 0x2000, v5
	v_addc_co_u32_e32 v6, vcc, 0, v6, vcc
	global_store_dwordx2 v[5:6], v[45:46], off offset:240
	s_and_b64 exec, exec, s[2:3]
	s_cbranch_execz .LBB0_25
; %bb.24:
	v_mov_b32_e32 v5, v1
	v_lshlrev_b64 v[0:1], 3, v[4:5]
	v_mov_b32_e32 v4, s9
	v_add_co_u32_e32 v0, vcc, s8, v0
	v_addc_co_u32_e32 v1, vcc, v4, v1, vcc
	v_add_co_u32_e32 v0, vcc, 0x1000, v0
	v_addc_co_u32_e32 v1, vcc, 0, v1, vcc
	global_load_dwordx2 v[0:1], v[0:1], off offset:392
	v_add_co_u32_e32 v4, vcc, 0x1000, v2
	v_addc_co_u32_e32 v5, vcc, 0, v3, vcc
	v_add_co_u32_e32 v2, vcc, 0x2000, v2
	v_addc_co_u32_e32 v3, vcc, 0, v3, vcc
	s_waitcnt vmcnt(0)
	v_mul_f32_e32 v6, v33, v1
	v_mul_f32_e32 v1, v44, v1
	v_fmac_f32_e32 v6, v44, v0
	v_fma_f32 v1, v33, v0, -v1
	v_sub_f32_e32 v0, v34, v6
	v_sub_f32_e32 v1, v35, v1
	v_fma_f32 v6, v34, 2.0, -v0
	v_fma_f32 v7, v35, 2.0, -v1
	global_store_dwordx2 v[4:5], v[6:7], off offset:256
	global_store_dwordx2 v[2:3], v[0:1], off offset:784
.LBB0_25:
	s_endpgm
	.section	.rodata,"a",@progbits
	.p2align	6, 0x0
	.amdhsa_kernel fft_rtc_back_len1156_factors_17_2_17_2_wgs_204_tpt_68_halfLds_sp_ip_CI_unitstride_sbrr_dirReg
		.amdhsa_group_segment_fixed_size 0
		.amdhsa_private_segment_fixed_size 0
		.amdhsa_kernarg_size 88
		.amdhsa_user_sgpr_count 6
		.amdhsa_user_sgpr_private_segment_buffer 1
		.amdhsa_user_sgpr_dispatch_ptr 0
		.amdhsa_user_sgpr_queue_ptr 0
		.amdhsa_user_sgpr_kernarg_segment_ptr 1
		.amdhsa_user_sgpr_dispatch_id 0
		.amdhsa_user_sgpr_flat_scratch_init 0
		.amdhsa_user_sgpr_private_segment_size 0
		.amdhsa_uses_dynamic_stack 0
		.amdhsa_system_sgpr_private_segment_wavefront_offset 0
		.amdhsa_system_sgpr_workgroup_id_x 1
		.amdhsa_system_sgpr_workgroup_id_y 0
		.amdhsa_system_sgpr_workgroup_id_z 0
		.amdhsa_system_sgpr_workgroup_info 0
		.amdhsa_system_vgpr_workitem_id 0
		.amdhsa_next_free_vgpr 104
		.amdhsa_next_free_sgpr 22
		.amdhsa_reserve_vcc 1
		.amdhsa_reserve_flat_scratch 0
		.amdhsa_float_round_mode_32 0
		.amdhsa_float_round_mode_16_64 0
		.amdhsa_float_denorm_mode_32 3
		.amdhsa_float_denorm_mode_16_64 3
		.amdhsa_dx10_clamp 1
		.amdhsa_ieee_mode 1
		.amdhsa_fp16_overflow 0
		.amdhsa_exception_fp_ieee_invalid_op 0
		.amdhsa_exception_fp_denorm_src 0
		.amdhsa_exception_fp_ieee_div_zero 0
		.amdhsa_exception_fp_ieee_overflow 0
		.amdhsa_exception_fp_ieee_underflow 0
		.amdhsa_exception_fp_ieee_inexact 0
		.amdhsa_exception_int_div_zero 0
	.end_amdhsa_kernel
	.text
.Lfunc_end0:
	.size	fft_rtc_back_len1156_factors_17_2_17_2_wgs_204_tpt_68_halfLds_sp_ip_CI_unitstride_sbrr_dirReg, .Lfunc_end0-fft_rtc_back_len1156_factors_17_2_17_2_wgs_204_tpt_68_halfLds_sp_ip_CI_unitstride_sbrr_dirReg
                                        ; -- End function
	.section	.AMDGPU.csdata,"",@progbits
; Kernel info:
; codeLenInByte = 14624
; NumSgprs: 26
; NumVgprs: 104
; ScratchSize: 0
; MemoryBound: 0
; FloatMode: 240
; IeeeMode: 1
; LDSByteSize: 0 bytes/workgroup (compile time only)
; SGPRBlocks: 3
; VGPRBlocks: 25
; NumSGPRsForWavesPerEU: 26
; NumVGPRsForWavesPerEU: 104
; Occupancy: 2
; WaveLimiterHint : 1
; COMPUTE_PGM_RSRC2:SCRATCH_EN: 0
; COMPUTE_PGM_RSRC2:USER_SGPR: 6
; COMPUTE_PGM_RSRC2:TRAP_HANDLER: 0
; COMPUTE_PGM_RSRC2:TGID_X_EN: 1
; COMPUTE_PGM_RSRC2:TGID_Y_EN: 0
; COMPUTE_PGM_RSRC2:TGID_Z_EN: 0
; COMPUTE_PGM_RSRC2:TIDIG_COMP_CNT: 0
	.type	__hip_cuid_4b8294512de8be32,@object ; @__hip_cuid_4b8294512de8be32
	.section	.bss,"aw",@nobits
	.globl	__hip_cuid_4b8294512de8be32
__hip_cuid_4b8294512de8be32:
	.byte	0                               ; 0x0
	.size	__hip_cuid_4b8294512de8be32, 1

	.ident	"AMD clang version 19.0.0git (https://github.com/RadeonOpenCompute/llvm-project roc-6.4.0 25133 c7fe45cf4b819c5991fe208aaa96edf142730f1d)"
	.section	".note.GNU-stack","",@progbits
	.addrsig
	.addrsig_sym __hip_cuid_4b8294512de8be32
	.amdgpu_metadata
---
amdhsa.kernels:
  - .args:
      - .actual_access:  read_only
        .address_space:  global
        .offset:         0
        .size:           8
        .value_kind:     global_buffer
      - .offset:         8
        .size:           8
        .value_kind:     by_value
      - .actual_access:  read_only
        .address_space:  global
        .offset:         16
        .size:           8
        .value_kind:     global_buffer
      - .actual_access:  read_only
        .address_space:  global
        .offset:         24
        .size:           8
        .value_kind:     global_buffer
      - .offset:         32
        .size:           8
        .value_kind:     by_value
      - .actual_access:  read_only
        .address_space:  global
        .offset:         40
        .size:           8
        .value_kind:     global_buffer
      - .actual_access:  read_only
        .address_space:  global
        .offset:         48
        .size:           8
        .value_kind:     global_buffer
      - .offset:         56
        .size:           4
        .value_kind:     by_value
      - .actual_access:  read_only
        .address_space:  global
        .offset:         64
        .size:           8
        .value_kind:     global_buffer
      - .actual_access:  read_only
        .address_space:  global
        .offset:         72
        .size:           8
        .value_kind:     global_buffer
      - .address_space:  global
        .offset:         80
        .size:           8
        .value_kind:     global_buffer
    .group_segment_fixed_size: 0
    .kernarg_segment_align: 8
    .kernarg_segment_size: 88
    .language:       OpenCL C
    .language_version:
      - 2
      - 0
    .max_flat_workgroup_size: 204
    .name:           fft_rtc_back_len1156_factors_17_2_17_2_wgs_204_tpt_68_halfLds_sp_ip_CI_unitstride_sbrr_dirReg
    .private_segment_fixed_size: 0
    .sgpr_count:     26
    .sgpr_spill_count: 0
    .symbol:         fft_rtc_back_len1156_factors_17_2_17_2_wgs_204_tpt_68_halfLds_sp_ip_CI_unitstride_sbrr_dirReg.kd
    .uniform_work_group_size: 1
    .uses_dynamic_stack: false
    .vgpr_count:     104
    .vgpr_spill_count: 0
    .wavefront_size: 64
amdhsa.target:   amdgcn-amd-amdhsa--gfx906
amdhsa.version:
  - 1
  - 2
...

	.end_amdgpu_metadata
